;; amdgpu-corpus repo=FlagOpen/FlagGems kind=triton arch=gfx950 opt=O3 lang=triton
	.amdgcn_target "amdgcn-amd-amdhsa--gfx950"
	.amdhsa_code_object_version 5
	.text
	.globl	layer_norm_backward_kernel      ; -- Begin function layer_norm_backward_kernel
	.p2align	8
	.type	layer_norm_backward_kernel,@function
layer_norm_backward_kernel:             ; @layer_norm_backward_kernel
.Lfunc_begin0:
	.cfi_sections .debug_frame
	.cfi_startproc
; %bb.394:
	.file	1 "/root/src/amdgpu-assembly/repos/FlagOpen__FlagGems/triton_aot_kernels" "layernorm_aot.py"
	.loc	1 8 0 prologue_end              ; layernorm_aot.py:8:0
	s_load_dwordx2 s[2:3], s[0:1], 0x0
	s_load_dwordx8 s[4:11], s[0:1], 0x8
	s_load_dwordx4 s[12:15], s[0:1], 0x28
	s_waitcnt lgkmcnt(0)
	s_branch .LBB0_0
	.loc	1 0 0 is_stmt 0                 ; :0:0
.Ltmp0:
	.p2align	8
; %bb.395:
.LBB0_0:
                                        ; implicit-def: $vgpr162 : SGPR spill to VGPR lane
.Ltmp1:
	.loc	1 20 29 is_stmt 1               ; layernorm_aot.py:20:29
	s_lshl_b32 s0, s16, 3
	v_writelane_b32 v162, s6, 0
	.loc	1 21 21                         ; layernorm_aot.py:21:21
	s_cmp_lt_i32 s0, s14
	s_mov_b32 s17, 0
	v_writelane_b32 v162, s7, 1
	s_cselect_b64 s[6:7], -1, 0
	.loc	1 25 12                         ; layernorm_aot.py:25:12
	v_writelane_b32 v162, s6, 2
	s_ashr_i32 s1, s0, 31
	s_mov_b32 s16, 0
	v_writelane_b32 v162, s7, 3
	s_lshl_b64 s[6:7], s[0:1], 2
	s_add_u32 s8, s8, s6
	s_addc_u32 s9, s9, s7
	s_mov_b32 s76, s15
.Ltmp2:
	.file	2 "/root/.local/lib/python3.13/site-packages/triton/language" "standard.py"
	.loc	2 293 36                        ; standard.py:293:36 @[ layernorm_aot.py:51:18 ]
	v_readfirstlane_b32 s33, v0
.Ltmp3:
	.loc	1 21 21                         ; layernorm_aot.py:21:21
	s_cmp_ge_i32 s0, s14
	v_writelane_b32 v162, s16, 4
	s_nop 1
	v_writelane_b32 v162, s17, 5
	.loc	1 28 19                         ; layernorm_aot.py:28:19
	s_cbranch_scc1 .LBB0_2
; %bb.1:
	v_readlane_b32 s16, v162, 4
	s_load_dword s16, s[8:9], 0x0
	v_readlane_b32 s17, v162, 5
	s_waitcnt lgkmcnt(0)
	v_writelane_b32 v162, s16, 4
	s_nop 1
	v_writelane_b32 v162, s17, 5
.LBB0_2:
	.loc	1 20 46                         ; layernorm_aot.py:20:46
	s_or_b32 s1, s0, 1
	.loc	1 21 21                         ; layernorm_aot.py:21:21
	s_cmp_lt_i32 s1, s14
	s_cselect_b64 s[16:17], -1, 0
	v_writelane_b32 v162, s16, 6
	s_cmp_ge_i32 s1, s14
	s_nop 0
	v_writelane_b32 v162, s17, 7
	.loc	1 28 19                         ; layernorm_aot.py:28:19
	s_cbranch_scc1 .LBB0_4
; %bb.3:
	v_readlane_b32 s16, v162, 4
	v_readlane_b32 s17, v162, 5
	s_load_dword s17, s[8:9], 0x4
	s_waitcnt lgkmcnt(0)
	v_writelane_b32 v162, s16, 4
	s_nop 1
	v_writelane_b32 v162, s17, 5
.LBB0_4:
	.loc	1 20 46                         ; layernorm_aot.py:20:46
	s_or_b32 s1, s0, 2
	.loc	1 21 21                         ; layernorm_aot.py:21:21
	s_cmp_lt_i32 s1, s14
	s_cselect_b64 s[16:17], -1, 0
	s_mov_b32 s85, 0
	v_writelane_b32 v162, s16, 8
	s_cmp_ge_i32 s1, s14
	s_mov_b32 s84, 0
	v_writelane_b32 v162, s17, 9
	.loc	1 28 19                         ; layernorm_aot.py:28:19
	s_cbranch_scc1 .LBB0_6
; %bb.5:
	s_load_dword s84, s[8:9], 0x8
.LBB0_6:
	.loc	1 20 46                         ; layernorm_aot.py:20:46
	s_or_b32 s1, s0, 3
	.loc	1 21 21                         ; layernorm_aot.py:21:21
	s_cmp_lt_i32 s1, s14
	s_cselect_b64 s[16:17], -1, 0
	v_writelane_b32 v162, s16, 10
	s_cmp_ge_i32 s1, s14
	s_nop 0
	v_writelane_b32 v162, s17, 11
	.loc	1 28 19                         ; layernorm_aot.py:28:19
	s_cbranch_scc1 .LBB0_8
; %bb.7:
	s_load_dword s85, s[8:9], 0xc
.LBB0_8:
	.loc	1 20 46                         ; layernorm_aot.py:20:46
	s_or_b32 s1, s0, 4
	.loc	1 21 21                         ; layernorm_aot.py:21:21
	s_cmp_lt_i32 s1, s14
	s_cselect_b64 s[16:17], -1, 0
	s_mov_b32 s91, 0
	v_writelane_b32 v162, s16, 12
	s_cmp_ge_i32 s1, s14
	s_mov_b32 s90, 0
	v_writelane_b32 v162, s17, 13
	.loc	1 28 19                         ; layernorm_aot.py:28:19
	s_cbranch_scc1 .LBB0_10
; %bb.9:
	s_load_dword s90, s[8:9], 0x10
.LBB0_10:
	.loc	1 20 46                         ; layernorm_aot.py:20:46
	s_or_b32 s1, s0, 5
	.loc	1 21 21                         ; layernorm_aot.py:21:21
	s_cmp_lt_i32 s1, s14
	s_cselect_b64 s[16:17], -1, 0
	v_writelane_b32 v162, s16, 14
	s_cmp_ge_i32 s1, s14
	s_nop 0
	v_writelane_b32 v162, s17, 15
	.loc	1 28 19                         ; layernorm_aot.py:28:19
	s_cbranch_scc1 .LBB0_12
; %bb.11:
	s_load_dword s91, s[8:9], 0x14
.LBB0_12:
	.loc	1 20 46                         ; layernorm_aot.py:20:46
	s_or_b32 s1, s0, 6
	.loc	1 21 21                         ; layernorm_aot.py:21:21
	s_cmp_lt_i32 s1, s14
	s_mov_b32 s97, 0
	s_cselect_b64 s[98:99], -1, 0
	s_cmp_ge_i32 s1, s14
	s_mov_b32 s96, 0
	.loc	1 28 19                         ; layernorm_aot.py:28:19
	s_cbranch_scc1 .LBB0_14
; %bb.13:
	s_load_dword s96, s[8:9], 0x18
.LBB0_14:
	.loc	1 20 46                         ; layernorm_aot.py:20:46
	s_or_b32 s1, s0, 7
	.loc	1 21 21                         ; layernorm_aot.py:21:21
	s_cmp_lt_i32 s1, s14
	s_cselect_b64 s[78:79], -1, 0
	s_cmp_ge_i32 s1, s14
	.loc	1 28 19                         ; layernorm_aot.py:28:19
	s_cbranch_scc1 .LBB0_16
; %bb.15:
	s_load_dword s97, s[8:9], 0x1c
.LBB0_16:
	.loc	1 26 12                         ; layernorm_aot.py:26:12
	s_add_u32 s8, s10, s6
	s_addc_u32 s9, s11, s7
	.loc	1 29 19                         ; layernorm_aot.py:29:19
	v_readlane_b32 s10, v162, 2
	v_readlane_b32 s11, v162, 3
	s_mov_b32 s7, 0
	s_andn2_b64 vcc, exec, s[10:11]
	s_mov_b32 s6, 0
	s_cbranch_vccnz .LBB0_18
; %bb.17:
	s_load_dword s6, s[8:9], 0x0
.LBB0_18:
	v_readlane_b32 s10, v162, 6
	v_readlane_b32 s11, v162, 7
	s_andn2_b64 vcc, exec, s[10:11]
	s_cbranch_vccnz .LBB0_20
; %bb.19:
	s_load_dword s7, s[8:9], 0x4
.LBB0_20:
	v_readlane_b32 s10, v162, 8
	v_readlane_b32 s11, v162, 9
	s_mov_b32 s83, 0
	s_andn2_b64 vcc, exec, s[10:11]
	s_mov_b32 s82, 0
	s_cbranch_vccnz .LBB0_22
; %bb.21:
	s_load_dword s82, s[8:9], 0x8
.LBB0_22:
	v_readlane_b32 s10, v162, 10
	v_readlane_b32 s11, v162, 11
	s_andn2_b64 vcc, exec, s[10:11]
	s_cbranch_vccnz .LBB0_24
; %bb.23:
	s_load_dword s83, s[8:9], 0xc
.LBB0_24:
	v_readlane_b32 s10, v162, 12
	v_readlane_b32 s11, v162, 13
	s_mov_b32 s87, 0
	s_andn2_b64 vcc, exec, s[10:11]
	s_mov_b32 s86, 0
	s_cbranch_vccnz .LBB0_26
; %bb.25:
	s_load_dword s86, s[8:9], 0x10
.LBB0_26:
	v_readlane_b32 s10, v162, 14
	v_readlane_b32 s11, v162, 15
	s_andn2_b64 vcc, exec, s[10:11]
	s_cbranch_vccz .LBB0_389
; %bb.27:
	.loc	1 0 19 is_stmt 0                ; layernorm_aot.py:0:19
	s_mov_b32 s89, 0
	.loc	1 29 19                         ; layernorm_aot.py:29:19
	s_andn2_b64 vcc, exec, s[98:99]
	s_mov_b32 s88, 0
	s_cbranch_vccz .LBB0_390
.LBB0_28:
	s_andn2_b64 vcc, exec, s[78:79]
	s_cbranch_vccnz .LBB0_30
.LBB0_29:
	s_load_dword s89, s[8:9], 0x1c
.LBB0_30:
	.loc	1 22 16 is_stmt 1               ; layernorm_aot.py:22:16
	s_mul_i32 s0, s76, s0
	s_mul_i32 s1, s76, 3
	s_add_i32 s10, s0, s1
	s_mul_i32 s1, s76, 5
	s_add_i32 s16, s0, s1
	;; [unrolled: 2-line block ×4, first 2 shown]
	.loc	1 22 10 is_stmt 0               ; layernorm_aot.py:22:10
	s_ashr_i32 s1, s0, 31
	.loc	1 22 16                         ; layernorm_aot.py:22:16
	s_lshl1_add_u32 s8, s76, s0
	s_lshl2_add_u32 s14, s76, s0
	.loc	1 22 10                         ; layernorm_aot.py:22:10
	s_lshl_b64 s[24:25], s[0:1], 2
	s_add_u32 s0, s2, s24
	s_addc_u32 s1, s3, s25
	s_ashr_i32 s77, s76, 31
	s_lshl_b64 s[26:27], s[76:77], 2
	s_add_u32 s22, s0, s26
	v_writelane_b32 v162, s0, 16
	s_addc_u32 s23, s1, s27
	s_ashr_i32 s9, s8, 31
	v_writelane_b32 v162, s1, 17
	s_lshl_b64 s[8:9], s[8:9], 2
	v_writelane_b32 v162, s22, 18
	s_add_u32 s0, s2, s8
	s_addc_u32 s1, s3, s9
	v_writelane_b32 v162, s23, 19
	s_ashr_i32 s11, s10, 31
	v_writelane_b32 v162, s0, 20
	s_lshl_b64 s[10:11], s[10:11], 2
	.loc	1 35 34 is_stmt 1               ; layernorm_aot.py:35:34
	v_and_b32_e32 v1, 63, v0
	v_writelane_b32 v162, s1, 21
	.loc	1 22 10                         ; layernorm_aot.py:22:10
	s_add_u32 s0, s2, s10
	s_addc_u32 s1, s3, s11
	s_ashr_i32 s15, s14, 31
	v_writelane_b32 v162, s0, 22
	s_lshl_b64 s[14:15], s[14:15], 2
                                        ; implicit-def: $vgpr143 : SGPR spill to VGPR lane
	v_mov_b32_e32 v3, 0
	v_writelane_b32 v162, s1, 23
	s_add_u32 s0, s2, s14
	s_addc_u32 s1, s3, s15
	s_ashr_i32 s17, s16, 31
	v_writelane_b32 v162, s0, 24
	s_lshl_b64 s[16:17], s[16:17], 2
	s_mov_b32 s92, 0
	v_writelane_b32 v162, s1, 25
	s_add_u32 s0, s2, s16
	s_addc_u32 s1, s3, s17
	s_ashr_i32 s19, s18, 31
	v_writelane_b32 v162, s0, 26
	s_lshl_b64 s[18:19], s[18:19], 2
	v_mov_b32_e32 v11, 0
	v_writelane_b32 v162, s1, 27
	s_add_u32 s0, s2, s18
	s_addc_u32 s1, s3, s19
	s_ashr_i32 s21, s20, 31
	v_writelane_b32 v162, s0, 28
	s_lshl_b64 s[20:21], s[20:21], 2
	v_mov_b32_e32 v10, 0
	v_writelane_b32 v162, s1, 29
	s_add_u32 s0, s2, s20
	s_addc_u32 s1, s3, s21
	v_writelane_b32 v162, s0, 30
	v_mov_b32_e32 v9, 0
	v_mov_b32_e32 v8, 0
	v_writelane_b32 v162, s1, 31
	.loc	1 23 9                          ; layernorm_aot.py:23:9
	s_add_u32 s0, s4, s24
	v_writelane_b32 v162, s24, 32
	s_addc_u32 s1, s5, s25
	s_add_u32 s2, s0, s26
	v_writelane_b32 v162, s25, 33
	v_writelane_b32 v162, s0, 34
	v_mov_b32_e32 v7, 0
	v_mov_b32_e32 v6, 0
	v_writelane_b32 v162, s1, 35
	v_writelane_b32 v162, s26, 36
	s_addc_u32 s3, s1, s27
	s_add_u32 s0, s4, s8
	v_writelane_b32 v162, s27, 37
	v_writelane_b32 v162, s2, 38
	v_mov_b32_e32 v5, 0
	v_mov_b32_e32 v4, 0
	v_writelane_b32 v162, s3, 39
	v_writelane_b32 v162, s8, 40
	s_addc_u32 s1, s5, s9
	v_mov_b32_e32 v41, 0
	v_writelane_b32 v162, s9, 41
	v_writelane_b32 v162, s0, 42
	v_mov_b32_e32 v40, 0
	v_mov_b32_e32 v25, 0
	v_writelane_b32 v162, s1, 43
	s_add_u32 s0, s4, s10
	v_writelane_b32 v162, s10, 44
	s_addc_u32 s1, s5, s11
	v_mov_b32_e32 v24, 0
	v_writelane_b32 v162, s11, 45
	v_writelane_b32 v162, s0, 46
	v_mov_b32_e32 v15, 0
	v_mov_b32_e32 v14, 0
	v_writelane_b32 v162, s1, 47
	s_add_u32 s0, s4, s14
	v_writelane_b32 v162, s14, 48
	s_addc_u32 s1, s5, s15
	v_mov_b32_e32 v13, 0
	v_writelane_b32 v162, s15, 49
	v_writelane_b32 v162, s0, 50
	v_mov_b32_e32 v12, 0
	s_nop 0
	v_writelane_b32 v162, s1, 51
	s_add_u32 s0, s4, s16
	v_writelane_b32 v162, s16, 52
	s_addc_u32 s1, s5, s17
	s_nop 0
	v_writelane_b32 v162, s17, 53
	v_writelane_b32 v162, s0, 54
	s_nop 1
	v_writelane_b32 v162, s1, 55
	s_add_u32 s0, s4, s18
	v_writelane_b32 v162, s18, 56
	s_addc_u32 s1, s5, s19
	s_nop 0
	v_writelane_b32 v162, s19, 57
	v_writelane_b32 v162, s0, 58
	;; [unrolled: 8-line block ×3, first 2 shown]
	s_nop 1
	v_writelane_b32 v162, s1, 63
	.loc	1 35 34                         ; layernorm_aot.py:35:34
	s_and_b32 s0, s33, 0xc0
	.loc	1 34 27                         ; layernorm_aot.py:34:27
	s_cmp_gt_i32 s76, 0
	s_cselect_b64 s[2:3], -1, 0
	.loc	1 35 34                         ; layernorm_aot.py:35:34
	v_or_b32_e32 v2, s0, v1
	.loc	1 34 27                         ; layernorm_aot.py:34:27
	v_writelane_b32 v143, s2, 0
	s_cmp_lt_i32 s76, 1
	v_add_u32_e32 v142, s0, v1
	v_writelane_b32 v143, s3, 1
	s_cbranch_scc1 .LBB0_170
; %bb.31:                               ; %.lr.ph.preheader
	.loc	1 0 27 is_stmt 0                ; layernorm_aot.py:0:27
	v_mov_b32_e32 v4, v3
	v_mov_b32_e32 v5, v3
	;; [unrolled: 1-line block ×64, first 2 shown]
	s_branch .LBB0_33
.LBB0_32:                               ;   in Loop: Header=BB0_33 Depth=1
	s_or_b64 exec, exec, s[20:21]
	v_readlane_b32 s20, v162, 4
	v_readlane_b32 s21, v162, 5
	.loc	1 40 31 is_stmt 1               ; layernorm_aot.py:40:31
	s_waitcnt vmcnt(0) lgkmcnt(0)
	v_pk_add_f32 v[114:115], v[114:115], s[84:85] neg_lo:[0,1] neg_hi:[0,1]
	v_pk_add_f32 v[112:113], v[112:113], s[84:85] neg_lo:[0,1] neg_hi:[0,1]
	;; [unrolled: 1-line block ×16, first 2 shown]
	.loc	1 45 24                         ; layernorm_aot.py:45:24
	v_mov_b32_e32 v125, v124
	.loc	1 40 37                         ; layernorm_aot.py:40:37
	v_cndmask_b32_e64 v107, 0, v107, s[8:9]
	v_cndmask_b32_e32 v106, 0, v106, vcc
	v_cndmask_b32_e64 v105, 0, v105, s[10:11]
	v_cndmask_b32_e64 v104, 0, v104, s[0:1]
	;; [unrolled: 1-line block ×30, first 2 shown]
	.loc	1 46 22                         ; layernorm_aot.py:46:22
	v_mov_b32_e32 v89, v88
	.loc	1 41 20                         ; layernorm_aot.py:41:20
	v_pk_mul_f32 v[106:107], s[6:7], v[106:107]
	v_pk_mul_f32 v[104:105], s[6:7], v[104:105]
	;; [unrolled: 1-line block ×16, first 2 shown]
	.loc	1 46 22                         ; layernorm_aot.py:46:22
	v_pk_mul_f32 v[140:141], v[70:71], v[126:127]
	v_pk_mul_f32 v[144:145], v[68:69], v[124:125]
	v_pk_mul_f32 v[146:147], v[74:75], v[94:95]
	v_pk_mul_f32 v[148:149], v[78:79], v[126:127]
	v_pk_mul_f32 v[150:151], v[76:77], v[124:125]
	v_pk_mul_f32 v[152:153], v[82:83], v[94:95]
	v_pk_mul_f32 v[154:155], v[86:87], v[126:127]
	v_pk_mul_f32 v[156:157], v[84:85], v[124:125]
	v_pk_mul_f32 v[158:159], v[92:93], v[94:95]
	v_pk_mul_f32 v[160:161], v[98:99], v[126:127]
	.loc	1 47 20                         ; layernorm_aot.py:47:20
	v_pk_fma_f32 v[46:47], v[70:71], v[126:127], v[46:47]
	.loc	1 46 22                         ; layernorm_aot.py:46:22
	v_pk_mul_f32 v[70:71], v[96:97], v[124:125]
	.loc	1 47 20                         ; layernorm_aot.py:47:20
	v_pk_fma_f32 v[40:41], v[68:69], v[124:125], v[40:41]
	.loc	1 46 22                         ; layernorm_aot.py:46:22
	v_pk_mul_f32 v[68:69], v[102:103], v[94:95]
	.loc	1 47 20                         ; layernorm_aot.py:47:20
	v_pk_fma_f32 v[48:49], v[74:75], v[94:95], v[48:49]
	v_pk_fma_f32 v[30:31], v[78:79], v[126:127], v[30:31]
	v_pk_fma_f32 v[24:25], v[76:77], v[124:125], v[24:25]
	.loc	1 46 22                         ; layernorm_aot.py:46:22
	v_pk_mul_f32 v[74:75], v[72:73], v[88:89]
	.loc	1 47 20                         ; layernorm_aot.py:47:20
	v_pk_fma_f32 v[50:51], v[72:73], v[88:89], v[50:51]
	.loc	1 46 22                         ; layernorm_aot.py:46:22
	v_pk_mul_f32 v[72:73], v[80:81], v[88:89]
	v_pk_mul_f32 v[76:77], v[90:91], v[88:89]
	;; [unrolled: 1-line block ×3, first 2 shown]
	.loc	1 34 27                         ; layernorm_aot.py:34:27
	s_addk_i32 s92, 0x400
	.loc	1 47 20                         ; layernorm_aot.py:47:20
	v_pk_fma_f32 v[32:33], v[82:83], v[94:95], v[32:33]
	v_pk_fma_f32 v[14:15], v[86:87], v[126:127], v[14:15]
	;; [unrolled: 1-line block ×10, first 2 shown]
	.loc	1 48 20                         ; layernorm_aot.py:48:20
	v_pk_fma_f32 v[62:63], v[106:107], v[140:141], v[62:63]
	v_pk_fma_f32 v[60:61], v[104:105], v[144:145], v[60:61]
	;; [unrolled: 1-line block ×15, first 2 shown]
	.loc	1 34 27                         ; layernorm_aot.py:34:27
	s_cmp_lt_i32 s92, s76
	.loc	1 48 20                         ; layernorm_aot.py:48:20
	v_pk_fma_f32 v[28:29], v[132:133], v[78:79], v[28:29]
	.loc	1 34 27                         ; layernorm_aot.py:34:27
	s_cbranch_scc0 .LBB0_169
.LBB0_33:                               ; %.lr.ph
                                        ; =>This Inner Loop Header: Depth=1
	.loc	1 35 21                         ; layernorm_aot.py:35:21
	v_add_u32_e32 v88, s92, v142
	.loc	1 37 28                         ; layernorm_aot.py:37:28
	v_readlane_b32 s0, v162, 2
	.loc	1 36 35                         ; layernorm_aot.py:36:35
	v_cmp_gt_i32_e64 s[20:21], s76, v88
	.loc	1 37 28                         ; layernorm_aot.py:37:28
	v_readlane_b32 s1, v162, 3
	s_and_b64 vcc, s[0:1], s[20:21]
	.loc	1 38 26                         ; layernorm_aot.py:38:26
	v_ashrrev_i32_e32 v89, 31, v88
	v_mov_b32_e32 v68, 0
	v_mov_b32_e32 v70, 0
	.loc	1 38 41 is_stmt 0               ; layernorm_aot.py:38:41
	s_and_saveexec_b64 s[0:1], vcc
	s_cbranch_execz .LBB0_35
; %bb.34:                               ;   in Loop: Header=BB0_33 Depth=1
	.loc	1 0 41                          ; layernorm_aot.py:0:41
	v_readlane_b32 s2, v162, 16
	v_readlane_b32 s3, v162, 17
	s_nop 1
	v_lshl_add_u64 v[70:71], v[88:89], 2, s[2:3]
	.loc	1 38 41                         ; layernorm_aot.py:38:41
	global_load_dword v70, v[70:71], off
.LBB0_35:                               ;   in Loop: Header=BB0_33 Depth=1
	.loc	1 0 41                          ; layernorm_aot.py:0:41
	s_or_b64 exec, exec, s[0:1]
	.loc	1 35 21 is_stmt 1               ; layernorm_aot.py:35:21
	v_add_u32_e32 v69, 0x100, v88
	.loc	1 37 28                         ; layernorm_aot.py:37:28
	v_readlane_b32 s0, v162, 2
	.loc	1 38 26                         ; layernorm_aot.py:38:26
	s_ashr_i32 s93, s92, 31
	v_readlane_b32 s2, v162, 16
	.loc	1 36 35                         ; layernorm_aot.py:36:35
	v_cmp_gt_i32_e64 s[22:23], s76, v69
	.loc	1 37 28                         ; layernorm_aot.py:37:28
	v_readlane_b32 s1, v162, 3
	v_lshl_add_u64 v[94:95], s[92:93], 0, v[2:3]
	.loc	1 38 26                         ; layernorm_aot.py:38:26
	v_readlane_b32 s3, v162, 17
	.loc	1 37 28                         ; layernorm_aot.py:37:28
	s_and_b64 s[0:1], s[0:1], s[22:23]
	.loc	1 38 26                         ; layernorm_aot.py:38:26
	s_nop 0
	v_lshl_add_u64 v[76:77], v[94:95], 2, s[2:3]
	.loc	1 38 41 is_stmt 0               ; layernorm_aot.py:38:41
	s_and_saveexec_b64 s[2:3], s[0:1]
	s_cbranch_execz .LBB0_37
; %bb.36:                               ;   in Loop: Header=BB0_33 Depth=1
	global_load_dword v68, v[76:77], off offset:1024
.LBB0_37:                               ;   in Loop: Header=BB0_33 Depth=1
	.loc	1 0 41                          ; layernorm_aot.py:0:41
	s_or_b64 exec, exec, s[2:3]
	.loc	1 35 21 is_stmt 1               ; layernorm_aot.py:35:21
	v_add_u32_e32 v69, 0x200, v88
	.loc	1 37 28                         ; layernorm_aot.py:37:28
	v_readlane_b32 s2, v162, 2
	.loc	1 36 35                         ; layernorm_aot.py:36:35
	v_cmp_gt_i32_e64 s[24:25], s76, v69
	.loc	1 37 28                         ; layernorm_aot.py:37:28
	v_readlane_b32 s3, v162, 3
	s_and_b64 s[2:3], s[2:3], s[24:25]
	v_mov_b32_e32 v72, 0
	v_mov_b32_e32 v74, 0
	.loc	1 38 41                         ; layernorm_aot.py:38:41
	s_and_saveexec_b64 s[4:5], s[2:3]
	s_cbranch_execz .LBB0_39
; %bb.38:                               ;   in Loop: Header=BB0_33 Depth=1
	global_load_dword v74, v[76:77], off offset:2048
.LBB0_39:                               ;   in Loop: Header=BB0_33 Depth=1
	.loc	1 0 41 is_stmt 0                ; layernorm_aot.py:0:41
	s_or_b64 exec, exec, s[4:5]
	.loc	1 36 35 is_stmt 1               ; layernorm_aot.py:36:35
	v_add_u32_e32 v69, 0x300, v88
	.loc	1 37 28                         ; layernorm_aot.py:37:28
	v_readlane_b32 s4, v162, 2
	.loc	1 36 35                         ; layernorm_aot.py:36:35
	v_cmp_gt_i32_e64 s[26:27], s76, v69
	.loc	1 37 28                         ; layernorm_aot.py:37:28
	v_readlane_b32 s5, v162, 3
	s_and_b64 s[4:5], s[4:5], s[26:27]
	.loc	1 38 41                         ; layernorm_aot.py:38:41
	s_and_saveexec_b64 s[8:9], s[4:5]
	s_cbranch_execz .LBB0_41
; %bb.40:                               ;   in Loop: Header=BB0_33 Depth=1
	global_load_dword v72, v[76:77], off offset:3072
.LBB0_41:                               ;   in Loop: Header=BB0_33 Depth=1
	.loc	1 0 41 is_stmt 0                ; layernorm_aot.py:0:41
	s_or_b64 exec, exec, s[8:9]
	.loc	1 37 28 is_stmt 1               ; layernorm_aot.py:37:28
	v_readlane_b32 s8, v162, 6
	v_readlane_b32 s9, v162, 7
	s_and_b64 s[8:9], s[8:9], s[20:21]
	v_mov_b32_e32 v69, 0
	v_mov_b32_e32 v71, 0
	.loc	1 38 41                         ; layernorm_aot.py:38:41
	s_and_saveexec_b64 s[10:11], s[8:9]
	s_cbranch_execz .LBB0_43
; %bb.42:                               ;   in Loop: Header=BB0_33 Depth=1
	.loc	1 38 26 is_stmt 0               ; layernorm_aot.py:38:26
	v_readlane_b32 s14, v162, 18
	v_readlane_b32 s15, v162, 19
	s_nop 1
	v_lshl_add_u64 v[76:77], v[88:89], 2, s[14:15]
	.loc	1 38 41                         ; layernorm_aot.py:38:41
	global_load_dword v71, v[76:77], off
.LBB0_43:                               ;   in Loop: Header=BB0_33 Depth=1
	.loc	1 0 41                          ; layernorm_aot.py:0:41
	s_or_b64 exec, exec, s[10:11]
	.loc	1 37 28 is_stmt 1               ; layernorm_aot.py:37:28
	v_readlane_b32 s10, v162, 6
	.loc	1 38 26                         ; layernorm_aot.py:38:26
	v_readlane_b32 s14, v162, 18
	.loc	1 37 28                         ; layernorm_aot.py:37:28
	;; [unrolled: 2-line block ×4, first 2 shown]
	s_and_b64 s[10:11], s[10:11], s[22:23]
	.loc	1 38 26                         ; layernorm_aot.py:38:26
	s_nop 0
	v_lshl_add_u64 v[76:77], v[94:95], 2, s[14:15]
	.loc	1 38 41 is_stmt 0               ; layernorm_aot.py:38:41
	s_and_saveexec_b64 s[14:15], s[10:11]
	s_cbranch_execz .LBB0_45
; %bb.44:                               ;   in Loop: Header=BB0_33 Depth=1
	global_load_dword v69, v[76:77], off offset:1024
.LBB0_45:                               ;   in Loop: Header=BB0_33 Depth=1
	.loc	1 0 41                          ; layernorm_aot.py:0:41
	s_or_b64 exec, exec, s[14:15]
	.loc	1 37 28 is_stmt 1               ; layernorm_aot.py:37:28
	v_readlane_b32 s14, v162, 6
	v_readlane_b32 s15, v162, 7
	s_and_b64 s[14:15], s[14:15], s[24:25]
	v_mov_b32_e32 v73, 0
	v_mov_b32_e32 v75, 0
	.loc	1 38 41                         ; layernorm_aot.py:38:41
	s_and_saveexec_b64 s[16:17], s[14:15]
	s_cbranch_execz .LBB0_47
; %bb.46:                               ;   in Loop: Header=BB0_33 Depth=1
	global_load_dword v75, v[76:77], off offset:2048
.LBB0_47:                               ;   in Loop: Header=BB0_33 Depth=1
	.loc	1 0 41 is_stmt 0                ; layernorm_aot.py:0:41
	s_or_b64 exec, exec, s[16:17]
	.loc	1 37 28 is_stmt 1               ; layernorm_aot.py:37:28
	v_readlane_b32 s16, v162, 6
	v_readlane_b32 s17, v162, 7
	s_and_b64 s[16:17], s[16:17], s[26:27]
	.loc	1 38 41                         ; layernorm_aot.py:38:41
	s_and_saveexec_b64 s[18:19], s[16:17]
	s_cbranch_execz .LBB0_49
; %bb.48:                               ;   in Loop: Header=BB0_33 Depth=1
	global_load_dword v73, v[76:77], off offset:3072
.LBB0_49:                               ;   in Loop: Header=BB0_33 Depth=1
	.loc	1 0 41 is_stmt 0                ; layernorm_aot.py:0:41
	s_or_b64 exec, exec, s[18:19]
	.loc	1 37 28 is_stmt 1               ; layernorm_aot.py:37:28
	v_readlane_b32 s18, v162, 8
	v_readlane_b32 s19, v162, 9
	s_and_b64 s[18:19], s[18:19], s[20:21]
	v_mov_b32_e32 v76, 0
	v_mov_b32_e32 v78, 0
	.loc	1 38 41                         ; layernorm_aot.py:38:41
	s_and_saveexec_b64 s[28:29], s[18:19]
	s_cbranch_execz .LBB0_51
; %bb.50:                               ;   in Loop: Header=BB0_33 Depth=1
	.loc	1 38 26 is_stmt 0               ; layernorm_aot.py:38:26
	v_readlane_b32 s30, v162, 20
	v_readlane_b32 s31, v162, 21
	s_nop 1
	v_lshl_add_u64 v[78:79], v[88:89], 2, s[30:31]
	.loc	1 38 41                         ; layernorm_aot.py:38:41
	global_load_dword v78, v[78:79], off
.LBB0_51:                               ;   in Loop: Header=BB0_33 Depth=1
	.loc	1 0 41                          ; layernorm_aot.py:0:41
	s_or_b64 exec, exec, s[28:29]
	.loc	1 37 28 is_stmt 1               ; layernorm_aot.py:37:28
	v_readlane_b32 s28, v162, 8
	.loc	1 38 26                         ; layernorm_aot.py:38:26
	v_readlane_b32 s30, v162, 20
	.loc	1 37 28                         ; layernorm_aot.py:37:28
	;; [unrolled: 2-line block ×4, first 2 shown]
	s_and_b64 s[28:29], s[28:29], s[22:23]
	.loc	1 38 26                         ; layernorm_aot.py:38:26
	s_nop 0
	v_lshl_add_u64 v[84:85], v[94:95], 2, s[30:31]
	.loc	1 38 41 is_stmt 0               ; layernorm_aot.py:38:41
	s_and_saveexec_b64 s[30:31], s[28:29]
	s_cbranch_execz .LBB0_53
; %bb.52:                               ;   in Loop: Header=BB0_33 Depth=1
	global_load_dword v76, v[84:85], off offset:1024
.LBB0_53:                               ;   in Loop: Header=BB0_33 Depth=1
	.loc	1 0 41                          ; layernorm_aot.py:0:41
	s_or_b64 exec, exec, s[30:31]
	.loc	1 37 28 is_stmt 1               ; layernorm_aot.py:37:28
	v_readlane_b32 s30, v162, 8
	v_readlane_b32 s31, v162, 9
	s_and_b64 s[30:31], s[30:31], s[24:25]
	v_mov_b32_e32 v80, 0
	v_mov_b32_e32 v82, 0
	.loc	1 38 41                         ; layernorm_aot.py:38:41
	s_and_saveexec_b64 s[34:35], s[30:31]
	s_cbranch_execz .LBB0_55
; %bb.54:                               ;   in Loop: Header=BB0_33 Depth=1
	global_load_dword v82, v[84:85], off offset:2048
.LBB0_55:                               ;   in Loop: Header=BB0_33 Depth=1
	.loc	1 0 41 is_stmt 0                ; layernorm_aot.py:0:41
	s_or_b64 exec, exec, s[34:35]
	.loc	1 37 28 is_stmt 1               ; layernorm_aot.py:37:28
	v_readlane_b32 s34, v162, 8
	v_readlane_b32 s35, v162, 9
	s_and_b64 s[34:35], s[34:35], s[26:27]
	.loc	1 38 41                         ; layernorm_aot.py:38:41
	s_and_saveexec_b64 s[36:37], s[34:35]
	s_cbranch_execz .LBB0_57
; %bb.56:                               ;   in Loop: Header=BB0_33 Depth=1
	global_load_dword v80, v[84:85], off offset:3072
.LBB0_57:                               ;   in Loop: Header=BB0_33 Depth=1
	.loc	1 0 41 is_stmt 0                ; layernorm_aot.py:0:41
	s_or_b64 exec, exec, s[36:37]
	.loc	1 37 28 is_stmt 1               ; layernorm_aot.py:37:28
	v_readlane_b32 s36, v162, 10
	v_readlane_b32 s37, v162, 11
	s_and_b64 s[36:37], s[36:37], s[20:21]
	v_mov_b32_e32 v77, 0
	v_mov_b32_e32 v79, 0
	.loc	1 38 41                         ; layernorm_aot.py:38:41
	s_and_saveexec_b64 s[38:39], s[36:37]
	s_cbranch_execz .LBB0_59
; %bb.58:                               ;   in Loop: Header=BB0_33 Depth=1
	.loc	1 38 26 is_stmt 0               ; layernorm_aot.py:38:26
	v_readlane_b32 s40, v162, 22
	v_readlane_b32 s41, v162, 23
	s_nop 1
	v_lshl_add_u64 v[84:85], v[88:89], 2, s[40:41]
	.loc	1 38 41                         ; layernorm_aot.py:38:41
	global_load_dword v79, v[84:85], off
.LBB0_59:                               ;   in Loop: Header=BB0_33 Depth=1
	.loc	1 0 41                          ; layernorm_aot.py:0:41
	s_or_b64 exec, exec, s[38:39]
	.loc	1 37 28 is_stmt 1               ; layernorm_aot.py:37:28
	v_readlane_b32 s38, v162, 10
	.loc	1 38 26                         ; layernorm_aot.py:38:26
	v_readlane_b32 s40, v162, 22
	.loc	1 37 28                         ; layernorm_aot.py:37:28
	;; [unrolled: 2-line block ×4, first 2 shown]
	s_and_b64 s[38:39], s[38:39], s[22:23]
	.loc	1 38 26                         ; layernorm_aot.py:38:26
	s_nop 0
	v_lshl_add_u64 v[84:85], v[94:95], 2, s[40:41]
	.loc	1 38 41 is_stmt 0               ; layernorm_aot.py:38:41
	s_and_saveexec_b64 s[40:41], s[38:39]
	s_cbranch_execz .LBB0_61
; %bb.60:                               ;   in Loop: Header=BB0_33 Depth=1
	global_load_dword v77, v[84:85], off offset:1024
.LBB0_61:                               ;   in Loop: Header=BB0_33 Depth=1
	.loc	1 0 41                          ; layernorm_aot.py:0:41
	s_or_b64 exec, exec, s[40:41]
	.loc	1 37 28 is_stmt 1               ; layernorm_aot.py:37:28
	v_readlane_b32 s40, v162, 10
	v_readlane_b32 s41, v162, 11
	s_and_b64 s[40:41], s[40:41], s[24:25]
	v_mov_b32_e32 v81, 0
	v_mov_b32_e32 v83, 0
	.loc	1 38 41                         ; layernorm_aot.py:38:41
	s_and_saveexec_b64 s[42:43], s[40:41]
	s_cbranch_execz .LBB0_63
; %bb.62:                               ;   in Loop: Header=BB0_33 Depth=1
	global_load_dword v83, v[84:85], off offset:2048
.LBB0_63:                               ;   in Loop: Header=BB0_33 Depth=1
	.loc	1 0 41 is_stmt 0                ; layernorm_aot.py:0:41
	s_or_b64 exec, exec, s[42:43]
	.loc	1 37 28 is_stmt 1               ; layernorm_aot.py:37:28
	v_readlane_b32 s42, v162, 10
	v_readlane_b32 s43, v162, 11
	s_and_b64 s[42:43], s[42:43], s[26:27]
	.loc	1 38 41                         ; layernorm_aot.py:38:41
	s_and_saveexec_b64 s[44:45], s[42:43]
	s_cbranch_execz .LBB0_65
; %bb.64:                               ;   in Loop: Header=BB0_33 Depth=1
	global_load_dword v81, v[84:85], off offset:3072
.LBB0_65:                               ;   in Loop: Header=BB0_33 Depth=1
	.loc	1 0 41 is_stmt 0                ; layernorm_aot.py:0:41
	s_or_b64 exec, exec, s[44:45]
	.loc	1 37 28 is_stmt 1               ; layernorm_aot.py:37:28
	v_readlane_b32 s44, v162, 12
	v_readlane_b32 s45, v162, 13
	s_and_b64 s[44:45], s[44:45], s[20:21]
	v_mov_b32_e32 v84, 0
	v_mov_b32_e32 v86, 0
	.loc	1 38 41                         ; layernorm_aot.py:38:41
	s_and_saveexec_b64 s[46:47], s[44:45]
	s_cbranch_execz .LBB0_67
; %bb.66:                               ;   in Loop: Header=BB0_33 Depth=1
	.loc	1 38 26 is_stmt 0               ; layernorm_aot.py:38:26
	v_readlane_b32 s48, v162, 24
	v_readlane_b32 s49, v162, 25
	s_nop 1
	v_lshl_add_u64 v[86:87], v[88:89], 2, s[48:49]
	.loc	1 38 41                         ; layernorm_aot.py:38:41
	global_load_dword v86, v[86:87], off
.LBB0_67:                               ;   in Loop: Header=BB0_33 Depth=1
	.loc	1 0 41                          ; layernorm_aot.py:0:41
	s_or_b64 exec, exec, s[46:47]
	.loc	1 37 28 is_stmt 1               ; layernorm_aot.py:37:28
	v_readlane_b32 s46, v162, 12
	.loc	1 38 26                         ; layernorm_aot.py:38:26
	v_readlane_b32 s48, v162, 24
	.loc	1 37 28                         ; layernorm_aot.py:37:28
	;; [unrolled: 2-line block ×4, first 2 shown]
	s_and_b64 s[46:47], s[46:47], s[22:23]
	.loc	1 38 26                         ; layernorm_aot.py:38:26
	s_nop 0
	v_lshl_add_u64 v[96:97], v[94:95], 2, s[48:49]
	.loc	1 38 41 is_stmt 0               ; layernorm_aot.py:38:41
	s_and_saveexec_b64 s[48:49], s[46:47]
	s_cbranch_execz .LBB0_69
; %bb.68:                               ;   in Loop: Header=BB0_33 Depth=1
	global_load_dword v84, v[96:97], off offset:1024
.LBB0_69:                               ;   in Loop: Header=BB0_33 Depth=1
	.loc	1 0 41                          ; layernorm_aot.py:0:41
	s_or_b64 exec, exec, s[48:49]
	.loc	1 37 28 is_stmt 1               ; layernorm_aot.py:37:28
	v_readlane_b32 s48, v162, 12
	v_readlane_b32 s49, v162, 13
	s_and_b64 s[48:49], s[48:49], s[24:25]
	v_mov_b32_e32 v90, 0
	v_mov_b32_e32 v92, 0
	.loc	1 38 41                         ; layernorm_aot.py:38:41
	s_and_saveexec_b64 s[50:51], s[48:49]
	s_cbranch_execz .LBB0_71
; %bb.70:                               ;   in Loop: Header=BB0_33 Depth=1
	global_load_dword v92, v[96:97], off offset:2048
.LBB0_71:                               ;   in Loop: Header=BB0_33 Depth=1
	.loc	1 0 41 is_stmt 0                ; layernorm_aot.py:0:41
	s_or_b64 exec, exec, s[50:51]
	.loc	1 37 28 is_stmt 1               ; layernorm_aot.py:37:28
	v_readlane_b32 s50, v162, 12
	v_readlane_b32 s51, v162, 13
	s_and_b64 s[50:51], s[50:51], s[26:27]
	.loc	1 38 41                         ; layernorm_aot.py:38:41
	s_and_saveexec_b64 s[52:53], s[50:51]
	s_cbranch_execz .LBB0_73
; %bb.72:                               ;   in Loop: Header=BB0_33 Depth=1
	global_load_dword v90, v[96:97], off offset:3072
.LBB0_73:                               ;   in Loop: Header=BB0_33 Depth=1
	.loc	1 0 41 is_stmt 0                ; layernorm_aot.py:0:41
	s_or_b64 exec, exec, s[52:53]
	.loc	1 37 28 is_stmt 1               ; layernorm_aot.py:37:28
	v_readlane_b32 s52, v162, 14
	v_readlane_b32 s53, v162, 15
	s_and_b64 s[52:53], s[52:53], s[20:21]
	v_mov_b32_e32 v85, 0
	v_mov_b32_e32 v87, 0
	.loc	1 38 41                         ; layernorm_aot.py:38:41
	s_and_saveexec_b64 s[54:55], s[52:53]
	s_cbranch_execz .LBB0_75
; %bb.74:                               ;   in Loop: Header=BB0_33 Depth=1
	.loc	1 38 26 is_stmt 0               ; layernorm_aot.py:38:26
	v_readlane_b32 s56, v162, 26
	v_readlane_b32 s57, v162, 27
	s_nop 1
	v_lshl_add_u64 v[96:97], v[88:89], 2, s[56:57]
	.loc	1 38 41                         ; layernorm_aot.py:38:41
	global_load_dword v87, v[96:97], off
.LBB0_75:                               ;   in Loop: Header=BB0_33 Depth=1
	.loc	1 0 41                          ; layernorm_aot.py:0:41
	s_or_b64 exec, exec, s[54:55]
	.loc	1 37 28 is_stmt 1               ; layernorm_aot.py:37:28
	v_readlane_b32 s54, v162, 14
	.loc	1 38 26                         ; layernorm_aot.py:38:26
	v_readlane_b32 s56, v162, 26
	.loc	1 37 28                         ; layernorm_aot.py:37:28
	;; [unrolled: 2-line block ×4, first 2 shown]
	s_and_b64 s[54:55], s[54:55], s[22:23]
	.loc	1 38 26                         ; layernorm_aot.py:38:26
	s_nop 0
	v_lshl_add_u64 v[96:97], v[94:95], 2, s[56:57]
	.loc	1 38 41 is_stmt 0               ; layernorm_aot.py:38:41
	s_and_saveexec_b64 s[56:57], s[54:55]
	s_cbranch_execz .LBB0_77
; %bb.76:                               ;   in Loop: Header=BB0_33 Depth=1
	global_load_dword v85, v[96:97], off offset:1024
.LBB0_77:                               ;   in Loop: Header=BB0_33 Depth=1
	.loc	1 0 41                          ; layernorm_aot.py:0:41
	s_or_b64 exec, exec, s[56:57]
	.loc	1 37 28 is_stmt 1               ; layernorm_aot.py:37:28
	v_readlane_b32 s56, v162, 14
	v_readlane_b32 s57, v162, 15
	s_and_b64 s[56:57], s[56:57], s[24:25]
	v_mov_b32_e32 v91, 0
	v_mov_b32_e32 v93, 0
	.loc	1 38 41                         ; layernorm_aot.py:38:41
	s_and_saveexec_b64 s[58:59], s[56:57]
	s_cbranch_execz .LBB0_79
; %bb.78:                               ;   in Loop: Header=BB0_33 Depth=1
	global_load_dword v93, v[96:97], off offset:2048
.LBB0_79:                               ;   in Loop: Header=BB0_33 Depth=1
	.loc	1 0 41 is_stmt 0                ; layernorm_aot.py:0:41
	s_or_b64 exec, exec, s[58:59]
	.loc	1 37 28 is_stmt 1               ; layernorm_aot.py:37:28
	v_readlane_b32 s58, v162, 14
	v_readlane_b32 s59, v162, 15
	s_and_b64 s[58:59], s[58:59], s[26:27]
	.loc	1 38 41                         ; layernorm_aot.py:38:41
	s_and_saveexec_b64 s[60:61], s[58:59]
	s_cbranch_execz .LBB0_81
; %bb.80:                               ;   in Loop: Header=BB0_33 Depth=1
	global_load_dword v91, v[96:97], off offset:3072
.LBB0_81:                               ;   in Loop: Header=BB0_33 Depth=1
	.loc	1 0 41 is_stmt 0                ; layernorm_aot.py:0:41
	s_or_b64 exec, exec, s[60:61]
	.loc	1 37 28 is_stmt 1               ; layernorm_aot.py:37:28
	s_and_b64 s[60:61], s[98:99], s[20:21]
	v_mov_b32_e32 v96, 0
	v_mov_b32_e32 v98, 0
	.loc	1 38 41                         ; layernorm_aot.py:38:41
	s_and_saveexec_b64 s[62:63], s[60:61]
	s_cbranch_execz .LBB0_83
; %bb.82:                               ;   in Loop: Header=BB0_33 Depth=1
	.loc	1 38 26 is_stmt 0               ; layernorm_aot.py:38:26
	v_readlane_b32 s64, v162, 28
	v_readlane_b32 s65, v162, 29
	s_nop 1
	v_lshl_add_u64 v[98:99], v[88:89], 2, s[64:65]
	.loc	1 38 41                         ; layernorm_aot.py:38:41
	global_load_dword v98, v[98:99], off
.LBB0_83:                               ;   in Loop: Header=BB0_33 Depth=1
	.loc	1 0 41                          ; layernorm_aot.py:0:41
	s_or_b64 exec, exec, s[62:63]
	.loc	1 38 26                         ; layernorm_aot.py:38:26
	v_readlane_b32 s64, v162, 28
	v_readlane_b32 s65, v162, 29
	.loc	1 37 28 is_stmt 1               ; layernorm_aot.py:37:28
	s_and_b64 s[62:63], s[98:99], s[22:23]
	.loc	1 38 26                         ; layernorm_aot.py:38:26
	s_nop 0
	v_lshl_add_u64 v[104:105], v[94:95], 2, s[64:65]
	.loc	1 38 41 is_stmt 0               ; layernorm_aot.py:38:41
	s_and_saveexec_b64 s[64:65], s[62:63]
	s_cbranch_execz .LBB0_85
; %bb.84:                               ;   in Loop: Header=BB0_33 Depth=1
	global_load_dword v96, v[104:105], off offset:1024
.LBB0_85:                               ;   in Loop: Header=BB0_33 Depth=1
	.loc	1 0 41                          ; layernorm_aot.py:0:41
	s_or_b64 exec, exec, s[64:65]
	.loc	1 37 28 is_stmt 1               ; layernorm_aot.py:37:28
	s_and_b64 s[64:65], s[98:99], s[24:25]
	v_mov_b32_e32 v100, 0
	v_mov_b32_e32 v102, 0
	.loc	1 38 41                         ; layernorm_aot.py:38:41
	s_and_saveexec_b64 s[66:67], s[64:65]
	s_cbranch_execz .LBB0_87
; %bb.86:                               ;   in Loop: Header=BB0_33 Depth=1
	global_load_dword v102, v[104:105], off offset:2048
.LBB0_87:                               ;   in Loop: Header=BB0_33 Depth=1
	.loc	1 0 41 is_stmt 0                ; layernorm_aot.py:0:41
	s_or_b64 exec, exec, s[66:67]
	.loc	1 37 28 is_stmt 1               ; layernorm_aot.py:37:28
	s_and_b64 s[66:67], s[98:99], s[26:27]
	.loc	1 38 41                         ; layernorm_aot.py:38:41
	s_and_saveexec_b64 s[68:69], s[66:67]
	s_cbranch_execz .LBB0_89
; %bb.88:                               ;   in Loop: Header=BB0_33 Depth=1
	global_load_dword v100, v[104:105], off offset:3072
.LBB0_89:                               ;   in Loop: Header=BB0_33 Depth=1
	.loc	1 0 41 is_stmt 0                ; layernorm_aot.py:0:41
	s_or_b64 exec, exec, s[68:69]
	.loc	1 37 28 is_stmt 1               ; layernorm_aot.py:37:28
	s_and_b64 s[68:69], s[78:79], s[20:21]
	v_mov_b32_e32 v97, 0
	v_mov_b32_e32 v99, 0
	.loc	1 38 41                         ; layernorm_aot.py:38:41
	s_and_saveexec_b64 s[70:71], s[68:69]
	s_cbranch_execz .LBB0_91
; %bb.90:                               ;   in Loop: Header=BB0_33 Depth=1
	.loc	1 38 26 is_stmt 0               ; layernorm_aot.py:38:26
	v_readlane_b32 s72, v162, 30
	v_readlane_b32 s73, v162, 31
	s_nop 1
	v_lshl_add_u64 v[104:105], v[88:89], 2, s[72:73]
	.loc	1 38 41                         ; layernorm_aot.py:38:41
	global_load_dword v99, v[104:105], off
.LBB0_91:                               ;   in Loop: Header=BB0_33 Depth=1
	.loc	1 0 41                          ; layernorm_aot.py:0:41
	s_or_b64 exec, exec, s[70:71]
	.loc	1 38 26                         ; layernorm_aot.py:38:26
	v_readlane_b32 s72, v162, 30
	v_readlane_b32 s73, v162, 31
	.loc	1 37 28 is_stmt 1               ; layernorm_aot.py:37:28
	s_and_b64 s[70:71], s[78:79], s[22:23]
	.loc	1 38 26                         ; layernorm_aot.py:38:26
	s_nop 0
	v_lshl_add_u64 v[104:105], v[94:95], 2, s[72:73]
	.loc	1 38 41 is_stmt 0               ; layernorm_aot.py:38:41
	s_and_saveexec_b64 s[72:73], s[70:71]
	s_cbranch_execz .LBB0_93
; %bb.92:                               ;   in Loop: Header=BB0_33 Depth=1
	global_load_dword v97, v[104:105], off offset:1024
.LBB0_93:                               ;   in Loop: Header=BB0_33 Depth=1
	.loc	1 0 41                          ; layernorm_aot.py:0:41
	s_or_b64 exec, exec, s[72:73]
	.loc	1 37 28 is_stmt 1               ; layernorm_aot.py:37:28
	s_and_b64 s[72:73], s[78:79], s[24:25]
	v_mov_b32_e32 v101, 0
	v_mov_b32_e32 v103, 0
	.loc	1 38 41                         ; layernorm_aot.py:38:41
	s_and_saveexec_b64 s[74:75], s[72:73]
	s_cbranch_execz .LBB0_95
; %bb.94:                               ;   in Loop: Header=BB0_33 Depth=1
	global_load_dword v103, v[104:105], off offset:2048
.LBB0_95:                               ;   in Loop: Header=BB0_33 Depth=1
	.loc	1 0 41 is_stmt 0                ; layernorm_aot.py:0:41
	s_or_b64 exec, exec, s[74:75]
	.loc	1 37 28 is_stmt 1               ; layernorm_aot.py:37:28
	s_and_b64 s[74:75], s[78:79], s[26:27]
	.loc	1 38 41                         ; layernorm_aot.py:38:41
	s_and_saveexec_b64 s[94:95], s[74:75]
	s_cbranch_execz .LBB0_97
; %bb.96:                               ;   in Loop: Header=BB0_33 Depth=1
	global_load_dword v101, v[104:105], off offset:3072
.LBB0_97:                               ;   in Loop: Header=BB0_33 Depth=1
	.loc	1 0 41 is_stmt 0                ; layernorm_aot.py:0:41
	s_or_b64 exec, exec, s[94:95]
	v_mov_b32_e32 v104, 0
	v_mov_b32_e32 v106, 0
	.loc	1 39 39 is_stmt 1               ; layernorm_aot.py:39:39
	s_and_saveexec_b64 s[94:95], vcc
	s_cbranch_execz .LBB0_99
; %bb.98:                               ;   in Loop: Header=BB0_33 Depth=1
	.loc	1 0 39 is_stmt 0                ; layernorm_aot.py:0:39
	v_readlane_b32 s80, v162, 34
	v_readlane_b32 s81, v162, 35
	s_nop 1
	v_lshl_add_u64 v[106:107], v[88:89], 2, s[80:81]
	.loc	1 39 39                         ; layernorm_aot.py:39:39
	global_load_dword v106, v[106:107], off
.LBB0_99:                               ;   in Loop: Header=BB0_33 Depth=1
	.loc	1 0 39                          ; layernorm_aot.py:0:39
	s_or_b64 exec, exec, s[94:95]
	.loc	1 39 24                         ; layernorm_aot.py:39:24
	v_readlane_b32 s80, v162, 34
	v_readlane_b32 s81, v162, 35
	s_nop 1
	v_lshl_add_u64 v[112:113], v[94:95], 2, s[80:81]
	.loc	1 39 39                         ; layernorm_aot.py:39:39
	s_and_saveexec_b64 s[94:95], s[0:1]
	s_cbranch_execz .LBB0_101
; %bb.100:                              ;   in Loop: Header=BB0_33 Depth=1
	global_load_dword v104, v[112:113], off offset:1024
.LBB0_101:                              ;   in Loop: Header=BB0_33 Depth=1
	.loc	1 0 39                          ; layernorm_aot.py:0:39
	s_or_b64 exec, exec, s[94:95]
	v_mov_b32_e32 v108, 0
	v_mov_b32_e32 v110, 0
	.loc	1 39 39                         ; layernorm_aot.py:39:39
	s_and_saveexec_b64 s[94:95], s[2:3]
	s_cbranch_execz .LBB0_103
; %bb.102:                              ;   in Loop: Header=BB0_33 Depth=1
	global_load_dword v110, v[112:113], off offset:2048
.LBB0_103:                              ;   in Loop: Header=BB0_33 Depth=1
	.loc	1 0 39                          ; layernorm_aot.py:0:39
	s_or_b64 exec, exec, s[94:95]
	.loc	1 39 39                         ; layernorm_aot.py:39:39
	s_and_saveexec_b64 s[94:95], s[4:5]
	s_cbranch_execz .LBB0_105
; %bb.104:                              ;   in Loop: Header=BB0_33 Depth=1
	global_load_dword v108, v[112:113], off offset:3072
.LBB0_105:                              ;   in Loop: Header=BB0_33 Depth=1
	.loc	1 0 39                          ; layernorm_aot.py:0:39
	s_or_b64 exec, exec, s[94:95]
	v_mov_b32_e32 v105, 0
	v_mov_b32_e32 v107, 0
	.loc	1 39 39                         ; layernorm_aot.py:39:39
	s_and_saveexec_b64 s[94:95], s[8:9]
	s_cbranch_execz .LBB0_107
; %bb.106:                              ;   in Loop: Header=BB0_33 Depth=1
	.loc	1 39 24                         ; layernorm_aot.py:39:24
	v_readlane_b32 s80, v162, 38
	v_readlane_b32 s81, v162, 39
	s_nop 1
	v_lshl_add_u64 v[112:113], v[88:89], 2, s[80:81]
	.loc	1 39 39                         ; layernorm_aot.py:39:39
	global_load_dword v107, v[112:113], off
.LBB0_107:                              ;   in Loop: Header=BB0_33 Depth=1
	.loc	1 0 39                          ; layernorm_aot.py:0:39
	s_or_b64 exec, exec, s[94:95]
	.loc	1 39 24                         ; layernorm_aot.py:39:24
	v_readlane_b32 s80, v162, 38
	v_readlane_b32 s81, v162, 39
	s_nop 1
	v_lshl_add_u64 v[112:113], v[94:95], 2, s[80:81]
	.loc	1 39 39                         ; layernorm_aot.py:39:39
	s_and_saveexec_b64 s[94:95], s[10:11]
	s_cbranch_execz .LBB0_109
; %bb.108:                              ;   in Loop: Header=BB0_33 Depth=1
	global_load_dword v105, v[112:113], off offset:1024
.LBB0_109:                              ;   in Loop: Header=BB0_33 Depth=1
	.loc	1 0 39                          ; layernorm_aot.py:0:39
	s_or_b64 exec, exec, s[94:95]
	v_mov_b32_e32 v109, 0
	v_mov_b32_e32 v111, 0
	.loc	1 39 39                         ; layernorm_aot.py:39:39
	s_and_saveexec_b64 s[94:95], s[14:15]
	s_cbranch_execz .LBB0_111
; %bb.110:                              ;   in Loop: Header=BB0_33 Depth=1
	global_load_dword v111, v[112:113], off offset:2048
.LBB0_111:                              ;   in Loop: Header=BB0_33 Depth=1
	.loc	1 0 39                          ; layernorm_aot.py:0:39
	s_or_b64 exec, exec, s[94:95]
	.loc	1 39 39                         ; layernorm_aot.py:39:39
	s_and_saveexec_b64 s[94:95], s[16:17]
	s_cbranch_execz .LBB0_113
; %bb.112:                              ;   in Loop: Header=BB0_33 Depth=1
	global_load_dword v109, v[112:113], off offset:3072
.LBB0_113:                              ;   in Loop: Header=BB0_33 Depth=1
	.loc	1 0 39                          ; layernorm_aot.py:0:39
	s_or_b64 exec, exec, s[94:95]
	v_mov_b32_e32 v112, 0
	v_mov_b32_e32 v114, 0
	.loc	1 39 39                         ; layernorm_aot.py:39:39
	s_and_saveexec_b64 s[94:95], s[18:19]
	s_cbranch_execz .LBB0_115
; %bb.114:                              ;   in Loop: Header=BB0_33 Depth=1
	.loc	1 39 24                         ; layernorm_aot.py:39:24
	v_readlane_b32 s80, v162, 42
	v_readlane_b32 s81, v162, 43
	s_nop 1
	v_lshl_add_u64 v[114:115], v[88:89], 2, s[80:81]
	.loc	1 39 39                         ; layernorm_aot.py:39:39
	global_load_dword v114, v[114:115], off
.LBB0_115:                              ;   in Loop: Header=BB0_33 Depth=1
	;; [unrolled: 47-line block ×7, first 2 shown]
	.loc	1 0 39                          ; layernorm_aot.py:0:39
	s_or_b64 exec, exec, s[94:95]
	.loc	1 39 24                         ; layernorm_aot.py:39:24
	v_readlane_b32 s80, v162, 62
	v_readlane_b32 s81, v162, 63
	s_nop 1
	v_lshl_add_u64 v[124:125], v[94:95], 2, s[80:81]
	.loc	1 39 39                         ; layernorm_aot.py:39:39
	s_and_saveexec_b64 s[94:95], s[70:71]
	s_cbranch_execz .LBB0_157
; %bb.156:                              ;   in Loop: Header=BB0_33 Depth=1
	global_load_dword v135, v[124:125], off offset:1024
.LBB0_157:                              ;   in Loop: Header=BB0_33 Depth=1
	.loc	1 0 39                          ; layernorm_aot.py:0:39
	s_or_b64 exec, exec, s[94:95]
	v_mov_b32_e32 v133, 0
	v_mov_b32_e32 v139, 0
	.loc	1 39 39                         ; layernorm_aot.py:39:39
	s_and_saveexec_b64 s[94:95], s[72:73]
	s_cbranch_execz .LBB0_159
; %bb.158:                              ;   in Loop: Header=BB0_33 Depth=1
	global_load_dword v139, v[124:125], off offset:2048
.LBB0_159:                              ;   in Loop: Header=BB0_33 Depth=1
	.loc	1 0 39                          ; layernorm_aot.py:0:39
	s_or_b64 exec, exec, s[94:95]
	.loc	1 39 39                         ; layernorm_aot.py:39:39
	s_and_saveexec_b64 s[94:95], s[74:75]
	s_cbranch_execz .LBB0_161
; %bb.160:                              ;   in Loop: Header=BB0_33 Depth=1
	global_load_dword v133, v[124:125], off offset:3072
.LBB0_161:                              ;   in Loop: Header=BB0_33 Depth=1
	.loc	1 0 39                          ; layernorm_aot.py:0:39
	s_or_b64 exec, exec, s[94:95]
	v_mov_b32_e32 v124, 0
	v_mov_b32_e32 v126, 0
	;; [unrolled: 1-line block ×3, first 2 shown]
	.loc	1 45 24 is_stmt 1               ; layernorm_aot.py:45:24
	s_and_saveexec_b64 s[94:95], s[20:21]
	s_cbranch_execz .LBB0_163
; %bb.162:                              ;   in Loop: Header=BB0_33 Depth=1
	.loc	1 0 24 is_stmt 0                ; layernorm_aot.py:0:24
	v_readlane_b32 s20, v162, 0
	v_readlane_b32 s21, v162, 1
	s_nop 1
	v_lshl_add_u64 v[88:89], v[88:89], 2, s[20:21]
	.loc	1 45 24                         ; layernorm_aot.py:45:24
	global_load_dword v126, v[88:89], off
	s_waitcnt vmcnt(0)
	v_mov_b32_e32 v127, v126
.LBB0_163:                              ;   in Loop: Header=BB0_33 Depth=1
	.loc	1 0 24                          ; layernorm_aot.py:0:24
	s_or_b64 exec, exec, s[94:95]
	.loc	1 45 28                         ; layernorm_aot.py:45:28
	v_readlane_b32 s20, v162, 0
	v_readlane_b32 s21, v162, 1
	s_nop 1
	v_lshl_add_u64 v[140:141], v[94:95], 2, s[20:21]
	.loc	1 45 24                         ; layernorm_aot.py:45:24
	s_and_saveexec_b64 s[20:21], s[22:23]
	s_cbranch_execz .LBB0_165
; %bb.164:                              ;   in Loop: Header=BB0_33 Depth=1
	global_load_dword v124, v[140:141], off offset:1024
.LBB0_165:                              ;   in Loop: Header=BB0_33 Depth=1
	.loc	1 0 24                          ; layernorm_aot.py:0:24
	s_or_b64 exec, exec, s[20:21]
	v_mov_b32_e32 v88, 0
	v_mov_b32_e32 v94, 0
	;; [unrolled: 1-line block ×3, first 2 shown]
	.loc	1 45 24                         ; layernorm_aot.py:45:24
	s_and_saveexec_b64 s[20:21], s[24:25]
	s_cbranch_execz .LBB0_167
; %bb.166:                              ;   in Loop: Header=BB0_33 Depth=1
	global_load_dword v94, v[140:141], off offset:2048
	s_waitcnt vmcnt(0)
	v_mov_b32_e32 v95, v94
.LBB0_167:                              ;   in Loop: Header=BB0_33 Depth=1
	.loc	1 0 24                          ; layernorm_aot.py:0:24
	s_or_b64 exec, exec, s[20:21]
	.loc	1 45 24                         ; layernorm_aot.py:45:24
	s_and_saveexec_b64 s[20:21], s[26:27]
	s_cbranch_execz .LBB0_32
; %bb.168:                              ;   in Loop: Header=BB0_33 Depth=1
	global_load_dword v88, v[140:141], off offset:3072
	s_branch .LBB0_32
.LBB0_169:                              ; %._crit_edge.loopexit
.Ltmp4:
	.loc	2 263 15 is_stmt 1              ; standard.py:263:15 @[ standard.py:293:36 @[ layernorm_aot.py:50:18 ] ]
	v_pk_add_f32 v[12:13], v[14:15], v[12:13]
	v_pk_add_f32 v[4:5], v[6:7], v[4:5]
	;; [unrolled: 1-line block ×6, first 2 shown]
.Ltmp5:
	.loc	2 263 15 is_stmt 0              ; standard.py:263:15 @[ standard.py:293:36 @[ layernorm_aot.py:51:18 ] ]
	v_pk_add_f32 v[4:5], v[62:63], v[60:61]
.Ltmp6:
	.loc	2 263 15                        ; standard.py:263:15 @[ standard.py:293:36 @[ layernorm_aot.py:50:18 ] ]
	v_pk_add_f32 v[40:41], v[46:47], v[40:41]
.Ltmp7:
	.loc	2 263 15                        ; standard.py:263:15 @[ standard.py:293:36 @[ layernorm_aot.py:51:18 ] ]
	v_pk_add_f32 v[4:5], v[64:65], v[4:5]
.Ltmp8:
	.loc	2 263 15                        ; standard.py:263:15 @[ standard.py:293:36 @[ layernorm_aot.py:50:18 ] ]
	v_pk_add_f32 v[24:25], v[30:31], v[24:25]
.Ltmp9:
	.loc	2 263 15                        ; standard.py:263:15 @[ standard.py:293:36 @[ layernorm_aot.py:51:18 ] ]
	v_pk_add_f32 v[10:11], v[66:67], v[4:5]
	v_pk_add_f32 v[4:5], v[54:55], v[52:53]
.Ltmp10:
	.loc	2 263 15                        ; standard.py:263:15 @[ standard.py:293:36 @[ layernorm_aot.py:50:18 ] ]
	v_pk_add_f32 v[40:41], v[48:49], v[40:41]
.Ltmp11:
	.loc	2 263 15                        ; standard.py:263:15 @[ standard.py:293:36 @[ layernorm_aot.py:51:18 ] ]
	v_pk_add_f32 v[4:5], v[56:57], v[4:5]
.Ltmp12:
	.loc	2 263 15                        ; standard.py:263:15 @[ standard.py:293:36 @[ layernorm_aot.py:50:18 ] ]
	v_pk_add_f32 v[24:25], v[32:33], v[24:25]
.Ltmp13:
	.loc	2 263 15                        ; standard.py:263:15 @[ standard.py:293:36 @[ layernorm_aot.py:51:18 ] ]
	v_pk_add_f32 v[8:9], v[58:59], v[4:5]
	v_pk_add_f32 v[4:5], v[38:39], v[36:37]
.Ltmp14:
	.loc	2 263 15                        ; standard.py:263:15 @[ standard.py:293:36 @[ layernorm_aot.py:50:18 ] ]
	v_pk_add_f32 v[40:41], v[50:51], v[40:41]
.Ltmp15:
	.loc	2 263 15                        ; standard.py:263:15 @[ standard.py:293:36 @[ layernorm_aot.py:51:18 ] ]
	v_pk_add_f32 v[4:5], v[42:43], v[4:5]
.Ltmp16:
	.loc	2 263 15                        ; standard.py:263:15 @[ standard.py:293:36 @[ layernorm_aot.py:50:18 ] ]
	v_pk_add_f32 v[24:25], v[34:35], v[24:25]
.Ltmp17:
	.loc	2 263 15                        ; standard.py:263:15 @[ standard.py:293:36 @[ layernorm_aot.py:51:18 ] ]
	v_pk_add_f32 v[6:7], v[44:45], v[4:5]
	v_pk_add_f32 v[4:5], v[22:23], v[20:21]
	s_nop 0
	v_pk_add_f32 v[4:5], v[26:27], v[4:5]
	s_nop 0
	v_pk_add_f32 v[4:5], v[28:29], v[4:5]
.Ltmp18:
.LBB0_170:                              ; %._crit_edge
	.loc	2 263 15 is_stmt 1              ; standard.py:263:15 @[ standard.py:293:36 @[ layernorm_aot.py:50:18 ] ]
	v_add_f32_dpp v3, v40, v40 row_shr:8 row_mask:0xf bank_mask:0xf bound_ctrl:1
.Ltmp19:
	.loc	2 293 36                        ; standard.py:293:36 @[ layernorm_aot.py:50:18 ]
	s_lshr_b32 s0, s33, 4
	s_and_b32 s0, s0, 12
.Ltmp20:
	.loc	2 263 15                        ; standard.py:263:15 @[ standard.py:293:36 @[ layernorm_aot.py:50:18 ] ]
	v_add_f32_dpp v3, v3, v3 row_shr:4 row_mask:0xf bank_mask:0xf bound_ctrl:1
.Ltmp21:
	.loc	2 293 36                        ; standard.py:293:36 @[ layernorm_aot.py:50:18 ]
	v_cmp_eq_u32_e32 vcc, 0, v1
	s_add_i32 s8, s0, 0
.Ltmp22:
	.loc	2 263 15                        ; standard.py:263:15 @[ standard.py:293:36 @[ layernorm_aot.py:50:18 ] ]
	v_add_f32_dpp v3, v3, v3 row_shr:2 row_mask:0xf bank_mask:0xf bound_ctrl:1
	s_nop 1
	v_add_f32_dpp v3, v3, v3 row_shr:1 row_mask:0xf bank_mask:0xf bound_ctrl:1
.Ltmp23:
	.loc	2 293 36                        ; standard.py:293:36 @[ layernorm_aot.py:50:18 ]
	v_mov_b32_e32 v16, v3
	s_nop 1
	v_mov_b32_dpp v16, v16 row_bcast:15 row_mask:0xa bank_mask:0xf bound_ctrl:1
.Ltmp24:
	.loc	2 263 15                        ; standard.py:263:15 @[ standard.py:293:36 @[ layernorm_aot.py:50:18 ] ]
	v_add_f32_e32 v3, v3, v16
	s_nop 1
	v_add_f32_dpp v3, v3, v3 row_bcast:31 row_mask:0xf bank_mask:0xf bound_ctrl:1
.Ltmp25:
	.loc	2 293 36                        ; standard.py:293:36 @[ layernorm_aot.py:50:18 ]
	s_nop 0
	v_readlane_b32 s2, v3, 63
.Ltmp26:
	.loc	2 263 15                        ; standard.py:263:15 @[ standard.py:293:36 @[ layernorm_aot.py:50:18 ] ]
	v_add_f32_dpp v3, v41, v41 row_shr:8 row_mask:0xf bank_mask:0xf bound_ctrl:1
	s_nop 1
	v_add_f32_dpp v3, v3, v3 row_shr:4 row_mask:0xf bank_mask:0xf bound_ctrl:1
	s_nop 1
	;; [unrolled: 2-line block ×3, first 2 shown]
	v_add_f32_dpp v3, v3, v3 row_shr:1 row_mask:0xf bank_mask:0xf bound_ctrl:1
.Ltmp27:
	.loc	2 293 36                        ; standard.py:293:36 @[ layernorm_aot.py:50:18 ]
	v_mov_b32_e32 v16, v3
	s_nop 1
	v_mov_b32_dpp v16, v16 row_bcast:15 row_mask:0xa bank_mask:0xf bound_ctrl:1
.Ltmp28:
	.loc	2 263 15                        ; standard.py:263:15 @[ standard.py:293:36 @[ layernorm_aot.py:50:18 ] ]
	v_add_f32_e32 v3, v3, v16
	s_nop 1
	v_add_f32_dpp v3, v3, v3 row_bcast:31 row_mask:0xf bank_mask:0xf bound_ctrl:1
.Ltmp29:
	.loc	2 293 36                        ; standard.py:293:36 @[ layernorm_aot.py:50:18 ]
	s_nop 0
	v_readlane_b32 s4, v3, 63
.Ltmp30:
	.loc	2 263 15                        ; standard.py:263:15 @[ standard.py:293:36 @[ layernorm_aot.py:50:18 ] ]
	v_add_f32_dpp v3, v24, v24 row_shr:8 row_mask:0xf bank_mask:0xf bound_ctrl:1
	s_nop 1
	v_add_f32_dpp v3, v3, v3 row_shr:4 row_mask:0xf bank_mask:0xf bound_ctrl:1
	s_nop 1
	;; [unrolled: 2-line block ×3, first 2 shown]
	v_add_f32_dpp v3, v3, v3 row_shr:1 row_mask:0xf bank_mask:0xf bound_ctrl:1
.Ltmp31:
	.loc	2 293 36                        ; standard.py:293:36 @[ layernorm_aot.py:50:18 ]
	v_mov_b32_e32 v16, v3
	s_nop 1
	v_mov_b32_dpp v16, v16 row_bcast:15 row_mask:0xa bank_mask:0xf bound_ctrl:1
.Ltmp32:
	.loc	2 263 15                        ; standard.py:263:15 @[ standard.py:293:36 @[ layernorm_aot.py:50:18 ] ]
	v_add_f32_e32 v3, v3, v16
	s_nop 1
	v_add_f32_dpp v3, v3, v3 row_bcast:31 row_mask:0xf bank_mask:0xf bound_ctrl:1
.Ltmp33:
	.loc	2 293 36                        ; standard.py:293:36 @[ layernorm_aot.py:50:18 ]
	s_nop 0
	v_readlane_b32 s3, v3, 63
.Ltmp34:
	.loc	2 263 15                        ; standard.py:263:15 @[ standard.py:293:36 @[ layernorm_aot.py:50:18 ] ]
	v_add_f32_dpp v3, v25, v25 row_shr:8 row_mask:0xf bank_mask:0xf bound_ctrl:1
	s_nop 1
	v_add_f32_dpp v3, v3, v3 row_shr:4 row_mask:0xf bank_mask:0xf bound_ctrl:1
	s_nop 1
	;; [unrolled: 2-line block ×3, first 2 shown]
	v_add_f32_dpp v3, v3, v3 row_shr:1 row_mask:0xf bank_mask:0xf bound_ctrl:1
.Ltmp35:
	.loc	2 293 36                        ; standard.py:293:36 @[ layernorm_aot.py:50:18 ]
	v_mov_b32_e32 v16, v3
	s_nop 1
	v_mov_b32_dpp v16, v16 row_bcast:15 row_mask:0xa bank_mask:0xf bound_ctrl:1
.Ltmp36:
	.loc	2 263 15                        ; standard.py:263:15 @[ standard.py:293:36 @[ layernorm_aot.py:50:18 ] ]
	v_add_f32_e32 v3, v3, v16
	s_nop 1
	v_add_f32_dpp v3, v3, v3 row_bcast:31 row_mask:0xf bank_mask:0xf bound_ctrl:1
.Ltmp37:
	.loc	2 293 36                        ; standard.py:293:36 @[ layernorm_aot.py:50:18 ]
	s_nop 0
	v_readlane_b32 s9, v3, 63
.Ltmp38:
	.loc	2 263 15                        ; standard.py:263:15 @[ standard.py:293:36 @[ layernorm_aot.py:50:18 ] ]
	v_add_f32_dpp v3, v14, v14 row_shr:8 row_mask:0xf bank_mask:0xf bound_ctrl:1
	s_nop 1
	v_add_f32_dpp v3, v3, v3 row_shr:4 row_mask:0xf bank_mask:0xf bound_ctrl:1
	s_nop 1
	;; [unrolled: 2-line block ×3, first 2 shown]
	v_add_f32_dpp v3, v3, v3 row_shr:1 row_mask:0xf bank_mask:0xf bound_ctrl:1
.Ltmp39:
	.loc	2 293 36                        ; standard.py:293:36 @[ layernorm_aot.py:50:18 ]
	v_mov_b32_e32 v14, v3
	s_nop 1
	v_mov_b32_dpp v14, v14 row_bcast:15 row_mask:0xa bank_mask:0xf bound_ctrl:1
.Ltmp40:
	.loc	2 263 15                        ; standard.py:263:15 @[ standard.py:293:36 @[ layernorm_aot.py:50:18 ] ]
	v_add_f32_e32 v3, v3, v14
	s_nop 1
	v_add_f32_dpp v3, v3, v3 row_bcast:31 row_mask:0xf bank_mask:0xf bound_ctrl:1
.Ltmp41:
	.loc	2 293 36                        ; standard.py:293:36 @[ layernorm_aot.py:50:18 ]
	s_nop 0
	v_readlane_b32 s5, v3, 63
.Ltmp42:
	.loc	2 263 15                        ; standard.py:263:15 @[ standard.py:293:36 @[ layernorm_aot.py:50:18 ] ]
	v_add_f32_dpp v3, v15, v15 row_shr:8 row_mask:0xf bank_mask:0xf bound_ctrl:1
	s_nop 1
	v_add_f32_dpp v3, v3, v3 row_shr:4 row_mask:0xf bank_mask:0xf bound_ctrl:1
	s_nop 1
	;; [unrolled: 2-line block ×3, first 2 shown]
	v_add_f32_dpp v3, v3, v3 row_shr:1 row_mask:0xf bank_mask:0xf bound_ctrl:1
.Ltmp43:
	.loc	2 293 36                        ; standard.py:293:36 @[ layernorm_aot.py:50:18 ]
	v_mov_b32_e32 v14, v3
	s_nop 1
	v_mov_b32_dpp v14, v14 row_bcast:15 row_mask:0xa bank_mask:0xf bound_ctrl:1
.Ltmp44:
	.loc	2 263 15                        ; standard.py:263:15 @[ standard.py:293:36 @[ layernorm_aot.py:50:18 ] ]
	v_add_f32_e32 v3, v3, v14
	s_nop 1
	v_add_f32_dpp v3, v3, v3 row_bcast:31 row_mask:0xf bank_mask:0xf bound_ctrl:1
.Ltmp45:
	.loc	2 293 36                        ; standard.py:293:36 @[ layernorm_aot.py:50:18 ]
	s_nop 0
	v_readlane_b32 s11, v3, 63
.Ltmp46:
	.loc	2 263 15                        ; standard.py:263:15 @[ standard.py:293:36 @[ layernorm_aot.py:50:18 ] ]
	v_add_f32_dpp v3, v12, v12 row_shr:8 row_mask:0xf bank_mask:0xf bound_ctrl:1
	s_nop 1
	v_add_f32_dpp v3, v3, v3 row_shr:4 row_mask:0xf bank_mask:0xf bound_ctrl:1
	s_nop 1
	;; [unrolled: 2-line block ×3, first 2 shown]
	v_add_f32_dpp v3, v3, v3 row_shr:1 row_mask:0xf bank_mask:0xf bound_ctrl:1
.Ltmp47:
	.loc	2 293 36                        ; standard.py:293:36 @[ layernorm_aot.py:50:18 ]
	v_mov_b32_e32 v12, v3
	s_nop 1
	v_mov_b32_dpp v12, v12 row_bcast:15 row_mask:0xa bank_mask:0xf bound_ctrl:1
.Ltmp48:
	.loc	2 263 15                        ; standard.py:263:15 @[ standard.py:293:36 @[ layernorm_aot.py:50:18 ] ]
	v_add_f32_e32 v3, v3, v12
	s_nop 1
	v_add_f32_dpp v3, v3, v3 row_bcast:31 row_mask:0xf bank_mask:0xf bound_ctrl:1
.Ltmp49:
	.loc	2 293 36                        ; standard.py:293:36 @[ layernorm_aot.py:50:18 ]
	s_nop 0
	v_readlane_b32 s10, v3, 63
.Ltmp50:
	.loc	2 263 15                        ; standard.py:263:15 @[ standard.py:293:36 @[ layernorm_aot.py:50:18 ] ]
	v_add_f32_dpp v3, v13, v13 row_shr:8 row_mask:0xf bank_mask:0xf bound_ctrl:1
	s_nop 1
	v_add_f32_dpp v3, v3, v3 row_shr:4 row_mask:0xf bank_mask:0xf bound_ctrl:1
	s_nop 1
	;; [unrolled: 2-line block ×3, first 2 shown]
	v_add_f32_dpp v3, v3, v3 row_shr:1 row_mask:0xf bank_mask:0xf bound_ctrl:1
.Ltmp51:
	.loc	2 293 36                        ; standard.py:293:36 @[ layernorm_aot.py:50:18 ]
	v_mov_b32_e32 v12, v3
	s_nop 1
	v_mov_b32_dpp v12, v12 row_bcast:15 row_mask:0xa bank_mask:0xf bound_ctrl:1
.Ltmp52:
	.loc	2 263 15                        ; standard.py:263:15 @[ standard.py:293:36 @[ layernorm_aot.py:50:18 ] ]
	v_add_f32_e32 v3, v3, v12
	s_nop 1
	v_add_f32_dpp v3, v3, v3 row_bcast:31 row_mask:0xf bank_mask:0xf bound_ctrl:1
.Ltmp53:
	.loc	2 293 36                        ; standard.py:293:36 @[ layernorm_aot.py:50:18 ]
	s_nop 0
	v_readlane_b32 s14, v3, 63
	s_and_saveexec_b64 s[0:1], vcc
	s_cbranch_execnz .LBB0_391
; %bb.171:                              ; %.critedge
	.loc	2 0 36 is_stmt 0                ; standard.py:0:36
	s_or_b64 exec, exec, s[0:1]
	.loc	2 293 36                        ; standard.py:293:36 @[ layernorm_aot.py:50:18 ]
	s_and_saveexec_b64 s[0:1], vcc
	s_cbranch_execnz .LBB0_392
.LBB0_172:                              ; %.critedge4
	.loc	2 0 36                          ; standard.py:0:36
	s_or_b64 exec, exec, s[0:1]
	.loc	2 293 36                        ; standard.py:293:36 @[ layernorm_aot.py:50:18 ]
	s_and_saveexec_b64 s[0:1], vcc
	s_cbranch_execnz .LBB0_393
.LBB0_173:                              ; %.critedge8
	.loc	2 0 36                          ; standard.py:0:36
	s_or_b64 exec, exec, s[0:1]
	.loc	2 293 36                        ; standard.py:293:36 @[ layernorm_aot.py:50:18 ]
	s_and_saveexec_b64 s[0:1], vcc
.LBB0_174:
	v_mov_b32_e32 v1, s8
	v_mov_b32_e32 v3, s10
	;; [unrolled: 1-line block ×3, first 2 shown]
	ds_write2_b32 v1, v3, v12 offset0:24 offset1:28
.LBB0_175:                              ; %.critedge12
	.loc	2 0 36                          ; standard.py:0:36
	s_or_b64 exec, exec, s[0:1]
	.loc	2 293 36                        ; standard.py:293:36 @[ layernorm_aot.py:50:18 ]
	v_cmp_gt_u32_e64 s[0:1], 32, v0
	v_lshl_add_u32 v1, v0, 2, 0
.Ltmp54:
	.loc	1 50 18 is_stmt 1               ; layernorm_aot.py:50:18
	v_mov_b32_e32 v3, 0
.Ltmp55:
	.loc	2 293 36                        ; standard.py:293:36 @[ layernorm_aot.py:50:18 ]
	s_waitcnt lgkmcnt(0)
	s_barrier
	s_and_saveexec_b64 s[2:3], s[0:1]
; %bb.176:
	ds_read_b32 v3, v1
; %bb.177:
	.loc	2 0 36 is_stmt 0                ; standard.py:0:36
	s_or_b64 exec, exec, s[2:3]
	.loc	2 293 36                        ; standard.py:293:36 @[ layernorm_aot.py:50:18 ]
	s_waitcnt lgkmcnt(0)
	v_mov_b32_e32 v12, v3
	v_and_b32_e32 v0, 3, v0
	v_cmp_eq_u32_e64 s[2:3], 0, v0
	v_mov_b32_dpp v12, v12 quad_perm:[2,3,0,1] row_mask:0xf bank_mask:0xf
.Ltmp56:
	.loc	2 263 15 is_stmt 1              ; standard.py:263:15 @[ standard.py:293:36 @[ layernorm_aot.py:50:18 ] ]
	v_add_f32_e32 v3, v3, v12
.Ltmp57:
	.loc	2 293 36                        ; standard.py:293:36 @[ layernorm_aot.py:50:18 ]
	v_mov_b32_e32 v12, v3
	s_and_b64 s[2:3], s[0:1], s[2:3]
	s_nop 0
	v_mov_b32_dpp v12, v12 quad_perm:[1,0,3,2] row_mask:0xf bank_mask:0xf
	s_and_saveexec_b64 s[4:5], s[2:3]
; %bb.178:
	.loc	2 0 36 is_stmt 0                ; standard.py:0:36
	v_add_f32_e32 v0, v3, v12
	.loc	2 293 36                        ; standard.py:293:36 @[ layernorm_aot.py:50:18 ]
	ds_write_b32 v1, v0
; %bb.179:
	.loc	2 0 36                          ; standard.py:0:36
	s_or_b64 exec, exec, s[4:5]
	.loc	2 293 36                        ; standard.py:293:36 @[ layernorm_aot.py:50:18 ]
	v_mov_b32_e32 v0, 0
	s_waitcnt lgkmcnt(0)
	s_barrier
	ds_read_b32 v12, v0
	ds_read_b32 v13, v0 offset:16
	ds_read_b32 v14, v0 offset:32
	;; [unrolled: 1-line block ×7, first 2 shown]
.Ltmp58:
	.loc	2 263 15 is_stmt 1              ; standard.py:263:15 @[ standard.py:293:36 @[ layernorm_aot.py:51:18 ] ]
	v_add_f32_dpp v0, v10, v10 row_shr:8 row_mask:0xf bank_mask:0xf bound_ctrl:1
.Ltmp59:
	.loc	2 293 36                        ; standard.py:293:36 @[ layernorm_aot.py:51:18 ]
	s_waitcnt lgkmcnt(0)
	s_barrier
.Ltmp60:
	.loc	2 263 15                        ; standard.py:263:15 @[ standard.py:293:36 @[ layernorm_aot.py:51:18 ] ]
	v_add_f32_dpp v0, v0, v0 row_shr:4 row_mask:0xf bank_mask:0xf bound_ctrl:1
	s_nop 1
	v_add_f32_dpp v0, v0, v0 row_shr:2 row_mask:0xf bank_mask:0xf bound_ctrl:1
	s_nop 1
	v_add_f32_dpp v0, v0, v0 row_shr:1 row_mask:0xf bank_mask:0xf bound_ctrl:1
.Ltmp61:
	.loc	2 293 36                        ; standard.py:293:36 @[ layernorm_aot.py:51:18 ]
	v_mov_b32_e32 v3, v0
	s_nop 1
	v_mov_b32_dpp v3, v3 row_bcast:15 row_mask:0xa bank_mask:0xf bound_ctrl:1
.Ltmp62:
	.loc	2 263 15                        ; standard.py:263:15 @[ standard.py:293:36 @[ layernorm_aot.py:51:18 ] ]
	v_add_f32_e32 v0, v0, v3
	s_nop 1
	v_add_f32_dpp v0, v0, v0 row_bcast:31 row_mask:0xf bank_mask:0xf bound_ctrl:1
.Ltmp63:
	.loc	2 293 36                        ; standard.py:293:36 @[ layernorm_aot.py:51:18 ]
	s_nop 0
	v_readlane_b32 s9, v0, 63
.Ltmp64:
	.loc	2 263 15                        ; standard.py:263:15 @[ standard.py:293:36 @[ layernorm_aot.py:51:18 ] ]
	v_add_f32_dpp v0, v11, v11 row_shr:8 row_mask:0xf bank_mask:0xf bound_ctrl:1
	s_nop 1
	v_add_f32_dpp v0, v0, v0 row_shr:4 row_mask:0xf bank_mask:0xf bound_ctrl:1
	s_nop 1
	;; [unrolled: 2-line block ×3, first 2 shown]
	v_add_f32_dpp v0, v0, v0 row_shr:1 row_mask:0xf bank_mask:0xf bound_ctrl:1
.Ltmp65:
	.loc	2 293 36                        ; standard.py:293:36 @[ layernorm_aot.py:51:18 ]
	v_mov_b32_e32 v3, v0
	s_nop 1
	v_mov_b32_dpp v3, v3 row_bcast:15 row_mask:0xa bank_mask:0xf bound_ctrl:1
.Ltmp66:
	.loc	2 263 15                        ; standard.py:263:15 @[ standard.py:293:36 @[ layernorm_aot.py:51:18 ] ]
	v_add_f32_e32 v0, v0, v3
	s_nop 1
	v_add_f32_dpp v0, v0, v0 row_bcast:31 row_mask:0xf bank_mask:0xf bound_ctrl:1
.Ltmp67:
	.loc	2 293 36                        ; standard.py:293:36 @[ layernorm_aot.py:51:18 ]
	s_nop 0
	v_readlane_b32 s10, v0, 63
.Ltmp68:
	.loc	2 263 15                        ; standard.py:263:15 @[ standard.py:293:36 @[ layernorm_aot.py:51:18 ] ]
	v_add_f32_dpp v0, v8, v8 row_shr:8 row_mask:0xf bank_mask:0xf bound_ctrl:1
	s_nop 1
	v_add_f32_dpp v0, v0, v0 row_shr:4 row_mask:0xf bank_mask:0xf bound_ctrl:1
	s_nop 1
	v_add_f32_dpp v0, v0, v0 row_shr:2 row_mask:0xf bank_mask:0xf bound_ctrl:1
	s_nop 1
	v_add_f32_dpp v0, v0, v0 row_shr:1 row_mask:0xf bank_mask:0xf bound_ctrl:1
.Ltmp69:
	.loc	2 293 36                        ; standard.py:293:36 @[ layernorm_aot.py:51:18 ]
	v_mov_b32_e32 v3, v0
	s_nop 1
	v_mov_b32_dpp v3, v3 row_bcast:15 row_mask:0xa bank_mask:0xf bound_ctrl:1
.Ltmp70:
	.loc	2 263 15                        ; standard.py:263:15 @[ standard.py:293:36 @[ layernorm_aot.py:51:18 ] ]
	v_add_f32_e32 v0, v0, v3
	s_nop 1
	v_add_f32_dpp v0, v0, v0 row_bcast:31 row_mask:0xf bank_mask:0xf bound_ctrl:1
.Ltmp71:
	.loc	2 293 36                        ; standard.py:293:36 @[ layernorm_aot.py:51:18 ]
	s_nop 0
	v_readlane_b32 s11, v0, 63
.Ltmp72:
	.loc	2 263 15                        ; standard.py:263:15 @[ standard.py:293:36 @[ layernorm_aot.py:51:18 ] ]
	v_add_f32_dpp v0, v9, v9 row_shr:8 row_mask:0xf bank_mask:0xf bound_ctrl:1
	s_nop 1
	v_add_f32_dpp v0, v0, v0 row_shr:4 row_mask:0xf bank_mask:0xf bound_ctrl:1
	s_nop 1
	v_add_f32_dpp v0, v0, v0 row_shr:2 row_mask:0xf bank_mask:0xf bound_ctrl:1
	s_nop 1
	v_add_f32_dpp v0, v0, v0 row_shr:1 row_mask:0xf bank_mask:0xf bound_ctrl:1
.Ltmp73:
	.loc	2 293 36                        ; standard.py:293:36 @[ layernorm_aot.py:51:18 ]
	v_mov_b32_e32 v3, v0
	s_nop 1
	v_mov_b32_dpp v3, v3 row_bcast:15 row_mask:0xa bank_mask:0xf bound_ctrl:1
.Ltmp74:
	.loc	2 263 15                        ; standard.py:263:15 @[ standard.py:293:36 @[ layernorm_aot.py:51:18 ] ]
	v_add_f32_e32 v0, v0, v3
	s_nop 1
	v_add_f32_dpp v0, v0, v0 row_bcast:31 row_mask:0xf bank_mask:0xf bound_ctrl:1
.Ltmp75:
	.loc	2 293 36                        ; standard.py:293:36 @[ layernorm_aot.py:51:18 ]
	s_nop 0
	v_readlane_b32 s14, v0, 63
.Ltmp76:
	.loc	2 263 15                        ; standard.py:263:15 @[ standard.py:293:36 @[ layernorm_aot.py:51:18 ] ]
	v_add_f32_dpp v0, v6, v6 row_shr:8 row_mask:0xf bank_mask:0xf bound_ctrl:1
	s_nop 1
	v_add_f32_dpp v0, v0, v0 row_shr:4 row_mask:0xf bank_mask:0xf bound_ctrl:1
	s_nop 1
	;; [unrolled: 2-line block ×3, first 2 shown]
	v_add_f32_dpp v0, v0, v0 row_shr:1 row_mask:0xf bank_mask:0xf bound_ctrl:1
.Ltmp77:
	.loc	2 293 36                        ; standard.py:293:36 @[ layernorm_aot.py:51:18 ]
	v_mov_b32_e32 v3, v0
	s_nop 1
	v_mov_b32_dpp v3, v3 row_bcast:15 row_mask:0xa bank_mask:0xf bound_ctrl:1
.Ltmp78:
	.loc	2 263 15                        ; standard.py:263:15 @[ standard.py:293:36 @[ layernorm_aot.py:51:18 ] ]
	v_add_f32_e32 v0, v0, v3
	s_nop 1
	v_add_f32_dpp v0, v0, v0 row_bcast:31 row_mask:0xf bank_mask:0xf bound_ctrl:1
.Ltmp79:
	.loc	2 293 36                        ; standard.py:293:36 @[ layernorm_aot.py:51:18 ]
	s_nop 0
	v_readlane_b32 s15, v0, 63
.Ltmp80:
	.loc	2 263 15                        ; standard.py:263:15 @[ standard.py:293:36 @[ layernorm_aot.py:51:18 ] ]
	v_add_f32_dpp v0, v7, v7 row_shr:8 row_mask:0xf bank_mask:0xf bound_ctrl:1
	s_nop 1
	v_add_f32_dpp v0, v0, v0 row_shr:4 row_mask:0xf bank_mask:0xf bound_ctrl:1
	s_nop 1
	;; [unrolled: 2-line block ×3, first 2 shown]
	v_add_f32_dpp v0, v0, v0 row_shr:1 row_mask:0xf bank_mask:0xf bound_ctrl:1
.Ltmp81:
	.loc	2 293 36                        ; standard.py:293:36 @[ layernorm_aot.py:51:18 ]
	v_mov_b32_e32 v3, v0
	s_nop 1
	v_mov_b32_dpp v3, v3 row_bcast:15 row_mask:0xa bank_mask:0xf bound_ctrl:1
.Ltmp82:
	.loc	2 263 15                        ; standard.py:263:15 @[ standard.py:293:36 @[ layernorm_aot.py:51:18 ] ]
	v_add_f32_e32 v0, v0, v3
	s_nop 1
	v_add_f32_dpp v0, v0, v0 row_bcast:31 row_mask:0xf bank_mask:0xf bound_ctrl:1
.Ltmp83:
	.loc	2 293 36                        ; standard.py:293:36 @[ layernorm_aot.py:51:18 ]
	s_nop 0
	v_readlane_b32 s16, v0, 63
.Ltmp84:
	.loc	2 263 15                        ; standard.py:263:15 @[ standard.py:293:36 @[ layernorm_aot.py:51:18 ] ]
	v_add_f32_dpp v0, v4, v4 row_shr:8 row_mask:0xf bank_mask:0xf bound_ctrl:1
	s_nop 1
	v_add_f32_dpp v0, v0, v0 row_shr:4 row_mask:0xf bank_mask:0xf bound_ctrl:1
	s_nop 1
	;; [unrolled: 2-line block ×3, first 2 shown]
	v_add_f32_dpp v0, v0, v0 row_shr:1 row_mask:0xf bank_mask:0xf bound_ctrl:1
.Ltmp85:
	.loc	2 293 36                        ; standard.py:293:36 @[ layernorm_aot.py:51:18 ]
	v_mov_b32_e32 v3, v0
	s_nop 1
	v_mov_b32_dpp v3, v3 row_bcast:15 row_mask:0xa bank_mask:0xf bound_ctrl:1
.Ltmp86:
	.loc	2 263 15                        ; standard.py:263:15 @[ standard.py:293:36 @[ layernorm_aot.py:51:18 ] ]
	v_add_f32_e32 v0, v0, v3
	s_nop 1
	v_add_f32_dpp v0, v0, v0 row_bcast:31 row_mask:0xf bank_mask:0xf bound_ctrl:1
.Ltmp87:
	.loc	2 293 36                        ; standard.py:293:36 @[ layernorm_aot.py:51:18 ]
	s_nop 0
	v_readlane_b32 s17, v0, 63
.Ltmp88:
	.loc	2 263 15                        ; standard.py:263:15 @[ standard.py:293:36 @[ layernorm_aot.py:51:18 ] ]
	v_add_f32_dpp v0, v5, v5 row_shr:8 row_mask:0xf bank_mask:0xf bound_ctrl:1
	s_nop 1
	v_add_f32_dpp v0, v0, v0 row_shr:4 row_mask:0xf bank_mask:0xf bound_ctrl:1
	s_nop 1
	;; [unrolled: 2-line block ×3, first 2 shown]
	v_add_f32_dpp v0, v0, v0 row_shr:1 row_mask:0xf bank_mask:0xf bound_ctrl:1
.Ltmp89:
	.loc	2 293 36                        ; standard.py:293:36 @[ layernorm_aot.py:51:18 ]
	v_mov_b32_e32 v3, v0
	s_nop 1
	v_mov_b32_dpp v3, v3 row_bcast:15 row_mask:0xa bank_mask:0xf bound_ctrl:1
.Ltmp90:
	.loc	2 263 15                        ; standard.py:263:15 @[ standard.py:293:36 @[ layernorm_aot.py:51:18 ] ]
	v_add_f32_e32 v0, v0, v3
	s_nop 1
	v_add_f32_dpp v0, v0, v0 row_bcast:31 row_mask:0xf bank_mask:0xf bound_ctrl:1
.Ltmp91:
	.loc	2 293 36                        ; standard.py:293:36 @[ layernorm_aot.py:51:18 ]
	s_nop 0
	v_readlane_b32 s18, v0, 63
	s_and_saveexec_b64 s[4:5], vcc
	s_cbranch_execz .LBB0_181
; %bb.180:                              ; %.critedge14
	v_mov_b32_e32 v0, s8
	v_mov_b32_e32 v3, s9
	;; [unrolled: 1-line block ×3, first 2 shown]
	ds_write2_b32 v0, v3, v4 offset1:4
	v_mov_b32_e32 v3, s11
	v_mov_b32_e32 v4, s14
	ds_write2_b32 v0, v3, v4 offset0:8 offset1:12
	v_mov_b32_e32 v3, s15
	v_mov_b32_e32 v4, s16
	ds_write2_b32 v0, v3, v4 offset0:16 offset1:20
	;; [unrolled: 3-line block ×3, first 2 shown]
.Ltmp92:
.LBB0_181:                              ; %.critedge26
	.loc	2 0 36 is_stmt 0                ; standard.py:0:36
	s_or_b64 exec, exec, s[4:5]
	.loc	1 51 18 is_stmt 1               ; layernorm_aot.py:51:18
	v_mov_b32_e32 v0, 0
.Ltmp93:
	.loc	2 293 36                        ; standard.py:293:36 @[ layernorm_aot.py:51:18 ]
	s_waitcnt lgkmcnt(0)
	s_barrier
	s_and_saveexec_b64 s[4:5], s[0:1]
; %bb.182:
	ds_read_b32 v0, v1
; %bb.183:
	.loc	2 0 36 is_stmt 0                ; standard.py:0:36
	s_or_b64 exec, exec, s[4:5]
	.loc	2 293 36                        ; standard.py:293:36 @[ layernorm_aot.py:51:18 ]
	s_waitcnt lgkmcnt(0)
	v_mov_b32_e32 v3, v0
	s_nop 1
	v_mov_b32_dpp v3, v3 quad_perm:[2,3,0,1] row_mask:0xf bank_mask:0xf
.Ltmp94:
	.loc	2 263 15 is_stmt 1              ; standard.py:263:15 @[ standard.py:293:36 @[ layernorm_aot.py:51:18 ] ]
	v_add_f32_e32 v0, v0, v3
.Ltmp95:
	.loc	2 293 36                        ; standard.py:293:36 @[ layernorm_aot.py:51:18 ]
	v_mov_b32_e32 v3, v0
	s_nop 1
	v_mov_b32_dpp v3, v3 quad_perm:[1,0,3,2] row_mask:0xf bank_mask:0xf
	s_and_saveexec_b64 s[0:1], s[2:3]
; %bb.184:
	.loc	2 0 36 is_stmt 0                ; standard.py:0:36
	v_add_f32_e32 v0, v0, v3
	.loc	2 293 36                        ; standard.py:293:36 @[ layernorm_aot.py:51:18 ]
	ds_write_b32 v1, v0
.Ltmp96:
; %bb.185:
	.loc	2 0 36                          ; standard.py:0:36
	s_or_b64 exec, exec, s[0:1]
	.loc	1 53 27 is_stmt 1               ; layernorm_aot.py:53:27
	v_readlane_b32 s0, v143, 0
	v_readlane_b32 s1, v143, 1
	s_andn2_b64 vcc, exec, s[0:1]
.Ltmp97:
	.loc	2 293 36                        ; standard.py:293:36 @[ layernorm_aot.py:51:18 ]
	s_waitcnt lgkmcnt(0)
	s_barrier
.Ltmp98:
	.loc	1 53 27                         ; layernorm_aot.py:53:27
	s_cbranch_vccnz .LBB0_388
; %bb.186:                              ; %.lr.ph32.preheader
	.loc	1 0 27 is_stmt 0                ; layernorm_aot.py:0:27
	v_readlane_b32 s0, v162, 32
	v_readlane_b32 s1, v162, 33
	.loc	1 24 10 is_stmt 1               ; layernorm_aot.py:24:10
	s_add_u32 s74, s12, s0
	s_addc_u32 s75, s13, s1
	v_readlane_b32 s0, v162, 36
	v_readlane_b32 s1, v162, 37
	s_add_u32 s0, s74, s0
	s_addc_u32 s1, s75, s1
	v_writelane_b32 v143, s0, 0
.Ltmp99:
	.loc	2 293 36                        ; standard.py:293:36 @[ layernorm_aot.py:51:18 ]
	v_mov_b32_e32 v3, 0
	ds_read_b32 v8, v3
	ds_read_b32 v9, v3 offset:16
	ds_read_b32 v10, v3 offset:32
	;; [unrolled: 1-line block ×7, first 2 shown]
	v_writelane_b32 v143, s1, 1
	v_readlane_b32 s0, v162, 40
	v_readlane_b32 s1, v162, 41
.Ltmp100:
	.loc	1 24 10                         ; layernorm_aot.py:24:10
	s_add_u32 s0, s12, s0
	s_addc_u32 s1, s13, s1
	v_writelane_b32 v162, s0, 32
	.loc	1 66 54                         ; layernorm_aot.py:66:54
	v_cvt_f32_i32_e32 v24, s76
.Ltmp101:
	.loc	2 293 36                        ; standard.py:293:36 @[ layernorm_aot.py:51:18 ]
	s_mov_b32 s72, 0
	v_writelane_b32 v162, s1, 33
	s_nop 0
	v_readlane_b32 s0, v162, 44
	v_readlane_b32 s1, v162, 45
.Ltmp102:
	.loc	1 24 10                         ; layernorm_aot.py:24:10
	s_add_u32 s0, s12, s0
	s_addc_u32 s1, s13, s1
	v_writelane_b32 v162, s0, 36
	s_nop 1
	v_writelane_b32 v162, s1, 37
	s_nop 0
	v_readlane_b32 s0, v162, 48
	v_readlane_b32 s1, v162, 49
	s_add_u32 s0, s12, s0
	s_addc_u32 s1, s13, s1
	v_writelane_b32 v162, s0, 40
	s_nop 1
	v_writelane_b32 v162, s1, 41
	s_nop 0
	v_readlane_b32 s0, v162, 52
	v_readlane_b32 s1, v162, 53
	;; [unrolled: 8-line block ×4, first 2 shown]
	s_add_u32 s0, s12, s0
	s_addc_u32 s1, s13, s1
	v_writelane_b32 v162, s0, 52
	s_nop 1
	v_writelane_b32 v162, s1, 53
	s_branch .LBB0_188
.LBB0_187:                              ;   in Loop: Header=BB0_188 Depth=1
	.loc	1 0 10 is_stmt 0                ; layernorm_aot.py:0:10
	s_or_b64 exec, exec, s[2:3]
	.loc	1 53 27 is_stmt 1               ; layernorm_aot.py:53:27
	s_addk_i32 s72, 0x400
	s_cmp_lt_i32 s72, s76
	s_cbranch_scc0 .LBB0_388
.LBB0_188:                              ; %.lr.ph32
                                        ; =>This Inner Loop Header: Depth=1
	.loc	1 54 21                         ; layernorm_aot.py:54:21
	v_add_u32_e32 v0, s72, v142
	.loc	1 56 28                         ; layernorm_aot.py:56:28
	v_readlane_b32 s0, v162, 2
	.loc	1 55 35                         ; layernorm_aot.py:55:35
	v_cmp_gt_i32_e32 vcc, s76, v0
	.loc	1 56 28                         ; layernorm_aot.py:56:28
	v_readlane_b32 s1, v162, 3
	.loc	1 57 41                         ; layernorm_aot.py:57:41
	s_waitcnt vmcnt(0)
	v_mov_b32_e32 v54, 0
	.loc	1 56 28                         ; layernorm_aot.py:56:28
	s_and_b64 s[92:93], s[0:1], vcc
	.loc	1 57 26                         ; layernorm_aot.py:57:26
	v_ashrrev_i32_e32 v1, 31, v0
	v_mov_b32_e32 v56, v54
	.loc	1 57 41 is_stmt 0               ; layernorm_aot.py:57:41
	s_and_saveexec_b64 s[0:1], s[92:93]
	s_cbranch_execz .LBB0_190
; %bb.189:                              ;   in Loop: Header=BB0_188 Depth=1
	.loc	1 0 41                          ; layernorm_aot.py:0:41
	v_readlane_b32 s2, v162, 16
	v_readlane_b32 s3, v162, 17
	s_nop 1
	v_lshl_add_u64 v[4:5], v[0:1], 2, s[2:3]
	.loc	1 57 41                         ; layernorm_aot.py:57:41
	global_load_dword v56, v[4:5], off
.LBB0_190:                              ;   in Loop: Header=BB0_188 Depth=1
	.loc	1 0 41                          ; layernorm_aot.py:0:41
	s_or_b64 exec, exec, s[0:1]
	.loc	1 54 21 is_stmt 1               ; layernorm_aot.py:54:21
	v_add_u32_e32 v4, 0x100, v0
	.loc	1 56 28                         ; layernorm_aot.py:56:28
	v_readlane_b32 s0, v162, 2
	.loc	1 55 35                         ; layernorm_aot.py:55:35
	v_cmp_gt_i32_e64 s[66:67], s76, v4
	.loc	1 56 28                         ; layernorm_aot.py:56:28
	v_readlane_b32 s1, v162, 3
	s_and_b64 s[64:65], s[0:1], s[66:67]
	.loc	1 57 26                         ; layernorm_aot.py:57:26
	s_ashr_i32 s73, s72, 31
	v_readlane_b32 s0, v162, 16
	v_lshl_add_u64 v[4:5], s[72:73], 0, v[2:3]
	v_readlane_b32 s1, v162, 17
	s_nop 1
	v_lshl_add_u64 v[6:7], v[4:5], 2, s[0:1]
	.loc	1 57 41 is_stmt 0               ; layernorm_aot.py:57:41
	s_and_saveexec_b64 s[0:1], s[64:65]
	s_cbranch_execz .LBB0_192
; %bb.191:                              ;   in Loop: Header=BB0_188 Depth=1
	global_load_dword v54, v[6:7], off offset:1024
.LBB0_192:                              ;   in Loop: Header=BB0_188 Depth=1
	.loc	1 0 41                          ; layernorm_aot.py:0:41
	s_or_b64 exec, exec, s[0:1]
	.loc	1 54 21 is_stmt 1               ; layernorm_aot.py:54:21
	v_add_u32_e32 v25, 0x200, v0
	.loc	1 56 28                         ; layernorm_aot.py:56:28
	v_readlane_b32 s0, v162, 2
	.loc	1 55 35                         ; layernorm_aot.py:55:35
	v_cmp_gt_i32_e64 s[68:69], s76, v25
	.loc	1 56 28                         ; layernorm_aot.py:56:28
	v_readlane_b32 s1, v162, 3
	.loc	1 57 41                         ; layernorm_aot.py:57:41
	v_mov_b32_e32 v52, 0
	.loc	1 56 28                         ; layernorm_aot.py:56:28
	s_and_b64 s[62:63], s[0:1], s[68:69]
	v_mov_b32_e32 v55, v52
	.loc	1 57 41                         ; layernorm_aot.py:57:41
	s_and_saveexec_b64 s[0:1], s[62:63]
	s_cbranch_execz .LBB0_194
; %bb.193:                              ;   in Loop: Header=BB0_188 Depth=1
	global_load_dword v55, v[6:7], off offset:2048
.LBB0_194:                              ;   in Loop: Header=BB0_188 Depth=1
	.loc	1 0 41 is_stmt 0                ; layernorm_aot.py:0:41
	s_or_b64 exec, exec, s[0:1]
	.loc	1 55 35 is_stmt 1               ; layernorm_aot.py:55:35
	v_add_u32_e32 v25, 0x300, v0
	.loc	1 56 28                         ; layernorm_aot.py:56:28
	v_readlane_b32 s0, v162, 2
	.loc	1 55 35                         ; layernorm_aot.py:55:35
	v_cmp_gt_i32_e64 s[70:71], s76, v25
	.loc	1 56 28                         ; layernorm_aot.py:56:28
	v_readlane_b32 s1, v162, 3
	s_and_b64 s[60:61], s[0:1], s[70:71]
	.loc	1 57 41                         ; layernorm_aot.py:57:41
	s_and_saveexec_b64 s[0:1], s[60:61]
	s_cbranch_execz .LBB0_196
; %bb.195:                              ;   in Loop: Header=BB0_188 Depth=1
	global_load_dword v52, v[6:7], off offset:3072
.LBB0_196:                              ;   in Loop: Header=BB0_188 Depth=1
	.loc	1 0 41 is_stmt 0                ; layernorm_aot.py:0:41
	s_or_b64 exec, exec, s[0:1]
	.loc	1 56 28 is_stmt 1               ; layernorm_aot.py:56:28
	v_readlane_b32 s0, v162, 6
	v_readlane_b32 s1, v162, 7
	.loc	1 57 41                         ; layernorm_aot.py:57:41
	v_mov_b32_e32 v50, 0
	.loc	1 56 28                         ; layernorm_aot.py:56:28
	s_and_b64 s[58:59], s[0:1], vcc
	v_mov_b32_e32 v53, v50
	.loc	1 57 41                         ; layernorm_aot.py:57:41
	s_and_saveexec_b64 s[0:1], s[58:59]
	s_cbranch_execz .LBB0_198
; %bb.197:                              ;   in Loop: Header=BB0_188 Depth=1
	.loc	1 57 26 is_stmt 0               ; layernorm_aot.py:57:26
	v_readlane_b32 s2, v162, 18
	v_readlane_b32 s3, v162, 19
	s_nop 1
	v_lshl_add_u64 v[6:7], v[0:1], 2, s[2:3]
	.loc	1 57 41                         ; layernorm_aot.py:57:41
	global_load_dword v53, v[6:7], off
.LBB0_198:                              ;   in Loop: Header=BB0_188 Depth=1
	.loc	1 0 41                          ; layernorm_aot.py:0:41
	s_or_b64 exec, exec, s[0:1]
	.loc	1 56 28 is_stmt 1               ; layernorm_aot.py:56:28
	v_readlane_b32 s0, v162, 6
	v_readlane_b32 s1, v162, 7
	s_and_b64 s[56:57], s[0:1], s[66:67]
	.loc	1 57 26                         ; layernorm_aot.py:57:26
	v_readlane_b32 s0, v162, 18
	v_readlane_b32 s1, v162, 19
	s_nop 1
	v_lshl_add_u64 v[6:7], v[4:5], 2, s[0:1]
	.loc	1 57 41 is_stmt 0               ; layernorm_aot.py:57:41
	s_and_saveexec_b64 s[0:1], s[56:57]
	s_cbranch_execz .LBB0_200
; %bb.199:                              ;   in Loop: Header=BB0_188 Depth=1
	global_load_dword v50, v[6:7], off offset:1024
.LBB0_200:                              ;   in Loop: Header=BB0_188 Depth=1
	.loc	1 0 41                          ; layernorm_aot.py:0:41
	s_or_b64 exec, exec, s[0:1]
	.loc	1 56 28 is_stmt 1               ; layernorm_aot.py:56:28
	v_readlane_b32 s0, v162, 6
	v_readlane_b32 s1, v162, 7
	.loc	1 57 41                         ; layernorm_aot.py:57:41
	v_mov_b32_e32 v48, 0
	.loc	1 56 28                         ; layernorm_aot.py:56:28
	s_and_b64 s[54:55], s[0:1], s[68:69]
	v_mov_b32_e32 v51, v48
	.loc	1 57 41                         ; layernorm_aot.py:57:41
	s_and_saveexec_b64 s[0:1], s[54:55]
	s_cbranch_execz .LBB0_202
; %bb.201:                              ;   in Loop: Header=BB0_188 Depth=1
	global_load_dword v51, v[6:7], off offset:2048
.LBB0_202:                              ;   in Loop: Header=BB0_188 Depth=1
	.loc	1 0 41 is_stmt 0                ; layernorm_aot.py:0:41
	s_or_b64 exec, exec, s[0:1]
	.loc	1 56 28 is_stmt 1               ; layernorm_aot.py:56:28
	v_readlane_b32 s0, v162, 6
	v_readlane_b32 s1, v162, 7
	s_and_b64 s[52:53], s[0:1], s[70:71]
	.loc	1 57 41                         ; layernorm_aot.py:57:41
	s_and_saveexec_b64 s[0:1], s[52:53]
	s_cbranch_execz .LBB0_204
; %bb.203:                              ;   in Loop: Header=BB0_188 Depth=1
	global_load_dword v48, v[6:7], off offset:3072
.LBB0_204:                              ;   in Loop: Header=BB0_188 Depth=1
	.loc	1 0 41 is_stmt 0                ; layernorm_aot.py:0:41
	s_or_b64 exec, exec, s[0:1]
	.loc	1 56 28 is_stmt 1               ; layernorm_aot.py:56:28
	v_readlane_b32 s0, v162, 8
	v_readlane_b32 s1, v162, 9
	.loc	1 57 41                         ; layernorm_aot.py:57:41
	v_mov_b32_e32 v46, 0
	.loc	1 56 28                         ; layernorm_aot.py:56:28
	s_and_b64 s[50:51], s[0:1], vcc
	v_mov_b32_e32 v49, v46
	.loc	1 57 41                         ; layernorm_aot.py:57:41
	s_and_saveexec_b64 s[0:1], s[50:51]
	s_cbranch_execz .LBB0_206
; %bb.205:                              ;   in Loop: Header=BB0_188 Depth=1
	.loc	1 57 26 is_stmt 0               ; layernorm_aot.py:57:26
	v_readlane_b32 s2, v162, 20
	v_readlane_b32 s3, v162, 21
	s_nop 1
	v_lshl_add_u64 v[6:7], v[0:1], 2, s[2:3]
	.loc	1 57 41                         ; layernorm_aot.py:57:41
	global_load_dword v49, v[6:7], off
.LBB0_206:                              ;   in Loop: Header=BB0_188 Depth=1
	.loc	1 0 41                          ; layernorm_aot.py:0:41
	s_or_b64 exec, exec, s[0:1]
	.loc	1 56 28 is_stmt 1               ; layernorm_aot.py:56:28
	v_readlane_b32 s0, v162, 8
	v_readlane_b32 s1, v162, 9
	s_and_b64 s[48:49], s[0:1], s[66:67]
	.loc	1 57 26                         ; layernorm_aot.py:57:26
	v_readlane_b32 s0, v162, 20
	v_readlane_b32 s1, v162, 21
	s_nop 1
	v_lshl_add_u64 v[6:7], v[4:5], 2, s[0:1]
	.loc	1 57 41 is_stmt 0               ; layernorm_aot.py:57:41
	s_and_saveexec_b64 s[0:1], s[48:49]
	s_cbranch_execz .LBB0_208
; %bb.207:                              ;   in Loop: Header=BB0_188 Depth=1
	global_load_dword v46, v[6:7], off offset:1024
.LBB0_208:                              ;   in Loop: Header=BB0_188 Depth=1
	.loc	1 0 41                          ; layernorm_aot.py:0:41
	s_or_b64 exec, exec, s[0:1]
	.loc	1 56 28 is_stmt 1               ; layernorm_aot.py:56:28
	v_readlane_b32 s0, v162, 8
	v_readlane_b32 s1, v162, 9
	.loc	1 57 41                         ; layernorm_aot.py:57:41
	v_mov_b32_e32 v44, 0
	.loc	1 56 28                         ; layernorm_aot.py:56:28
	s_and_b64 s[46:47], s[0:1], s[68:69]
	v_mov_b32_e32 v47, v44
	.loc	1 57 41                         ; layernorm_aot.py:57:41
	s_and_saveexec_b64 s[0:1], s[46:47]
	s_cbranch_execz .LBB0_210
; %bb.209:                              ;   in Loop: Header=BB0_188 Depth=1
	global_load_dword v47, v[6:7], off offset:2048
.LBB0_210:                              ;   in Loop: Header=BB0_188 Depth=1
	.loc	1 0 41 is_stmt 0                ; layernorm_aot.py:0:41
	s_or_b64 exec, exec, s[0:1]
	.loc	1 56 28 is_stmt 1               ; layernorm_aot.py:56:28
	v_readlane_b32 s0, v162, 8
	v_readlane_b32 s1, v162, 9
	s_and_b64 s[44:45], s[0:1], s[70:71]
	.loc	1 57 41                         ; layernorm_aot.py:57:41
	s_and_saveexec_b64 s[0:1], s[44:45]
	s_cbranch_execz .LBB0_212
; %bb.211:                              ;   in Loop: Header=BB0_188 Depth=1
	global_load_dword v44, v[6:7], off offset:3072
.LBB0_212:                              ;   in Loop: Header=BB0_188 Depth=1
	.loc	1 0 41 is_stmt 0                ; layernorm_aot.py:0:41
	s_or_b64 exec, exec, s[0:1]
	.loc	1 56 28 is_stmt 1               ; layernorm_aot.py:56:28
	v_readlane_b32 s0, v162, 10
	v_readlane_b32 s1, v162, 11
	.loc	1 57 41                         ; layernorm_aot.py:57:41
	v_mov_b32_e32 v42, 0
	.loc	1 56 28                         ; layernorm_aot.py:56:28
	s_and_b64 s[42:43], s[0:1], vcc
	v_mov_b32_e32 v45, v42
	.loc	1 57 41                         ; layernorm_aot.py:57:41
	s_and_saveexec_b64 s[0:1], s[42:43]
	s_cbranch_execz .LBB0_214
; %bb.213:                              ;   in Loop: Header=BB0_188 Depth=1
	.loc	1 57 26 is_stmt 0               ; layernorm_aot.py:57:26
	v_readlane_b32 s2, v162, 22
	v_readlane_b32 s3, v162, 23
	s_nop 1
	v_lshl_add_u64 v[6:7], v[0:1], 2, s[2:3]
	.loc	1 57 41                         ; layernorm_aot.py:57:41
	global_load_dword v45, v[6:7], off
.LBB0_214:                              ;   in Loop: Header=BB0_188 Depth=1
	.loc	1 0 41                          ; layernorm_aot.py:0:41
	s_or_b64 exec, exec, s[0:1]
	.loc	1 56 28 is_stmt 1               ; layernorm_aot.py:56:28
	v_readlane_b32 s0, v162, 10
	v_readlane_b32 s1, v162, 11
	s_and_b64 s[40:41], s[0:1], s[66:67]
	.loc	1 57 26                         ; layernorm_aot.py:57:26
	v_readlane_b32 s0, v162, 22
	v_readlane_b32 s1, v162, 23
	s_nop 1
	v_lshl_add_u64 v[6:7], v[4:5], 2, s[0:1]
	.loc	1 57 41 is_stmt 0               ; layernorm_aot.py:57:41
	s_and_saveexec_b64 s[0:1], s[40:41]
	s_cbranch_execz .LBB0_216
; %bb.215:                              ;   in Loop: Header=BB0_188 Depth=1
	global_load_dword v42, v[6:7], off offset:1024
.LBB0_216:                              ;   in Loop: Header=BB0_188 Depth=1
	.loc	1 0 41                          ; layernorm_aot.py:0:41
	s_or_b64 exec, exec, s[0:1]
	.loc	1 56 28 is_stmt 1               ; layernorm_aot.py:56:28
	v_readlane_b32 s0, v162, 10
	v_readlane_b32 s1, v162, 11
	.loc	1 57 41                         ; layernorm_aot.py:57:41
	v_mov_b32_e32 v40, 0
	.loc	1 56 28                         ; layernorm_aot.py:56:28
	s_and_b64 s[38:39], s[0:1], s[68:69]
	v_mov_b32_e32 v43, v40
	.loc	1 57 41                         ; layernorm_aot.py:57:41
	s_and_saveexec_b64 s[0:1], s[38:39]
	s_cbranch_execz .LBB0_218
; %bb.217:                              ;   in Loop: Header=BB0_188 Depth=1
	global_load_dword v43, v[6:7], off offset:2048
.LBB0_218:                              ;   in Loop: Header=BB0_188 Depth=1
	.loc	1 0 41 is_stmt 0                ; layernorm_aot.py:0:41
	s_or_b64 exec, exec, s[0:1]
	.loc	1 56 28 is_stmt 1               ; layernorm_aot.py:56:28
	v_readlane_b32 s0, v162, 10
	v_readlane_b32 s1, v162, 11
	s_and_b64 s[36:37], s[0:1], s[70:71]
	.loc	1 57 41                         ; layernorm_aot.py:57:41
	s_and_saveexec_b64 s[0:1], s[36:37]
	s_cbranch_execz .LBB0_220
; %bb.219:                              ;   in Loop: Header=BB0_188 Depth=1
	global_load_dword v40, v[6:7], off offset:3072
.LBB0_220:                              ;   in Loop: Header=BB0_188 Depth=1
	.loc	1 0 41 is_stmt 0                ; layernorm_aot.py:0:41
	s_or_b64 exec, exec, s[0:1]
	.loc	1 56 28 is_stmt 1               ; layernorm_aot.py:56:28
	v_readlane_b32 s0, v162, 12
	v_readlane_b32 s1, v162, 13
	.loc	1 57 41                         ; layernorm_aot.py:57:41
	v_mov_b32_e32 v38, 0
	.loc	1 56 28                         ; layernorm_aot.py:56:28
	s_and_b64 s[34:35], s[0:1], vcc
	v_mov_b32_e32 v41, v38
	.loc	1 57 41                         ; layernorm_aot.py:57:41
	s_and_saveexec_b64 s[0:1], s[34:35]
	s_cbranch_execz .LBB0_222
; %bb.221:                              ;   in Loop: Header=BB0_188 Depth=1
	.loc	1 57 26 is_stmt 0               ; layernorm_aot.py:57:26
	v_readlane_b32 s2, v162, 24
	v_readlane_b32 s3, v162, 25
	s_nop 1
	v_lshl_add_u64 v[6:7], v[0:1], 2, s[2:3]
	.loc	1 57 41                         ; layernorm_aot.py:57:41
	global_load_dword v41, v[6:7], off
.LBB0_222:                              ;   in Loop: Header=BB0_188 Depth=1
	.loc	1 0 41                          ; layernorm_aot.py:0:41
	s_or_b64 exec, exec, s[0:1]
	.loc	1 56 28 is_stmt 1               ; layernorm_aot.py:56:28
	v_readlane_b32 s0, v162, 12
	v_readlane_b32 s1, v162, 13
	s_and_b64 s[30:31], s[0:1], s[66:67]
	.loc	1 57 26                         ; layernorm_aot.py:57:26
	v_readlane_b32 s0, v162, 24
	v_readlane_b32 s1, v162, 25
	s_nop 1
	v_lshl_add_u64 v[6:7], v[4:5], 2, s[0:1]
	.loc	1 57 41 is_stmt 0               ; layernorm_aot.py:57:41
	s_and_saveexec_b64 s[0:1], s[30:31]
	s_cbranch_execz .LBB0_224
; %bb.223:                              ;   in Loop: Header=BB0_188 Depth=1
	global_load_dword v38, v[6:7], off offset:1024
.LBB0_224:                              ;   in Loop: Header=BB0_188 Depth=1
	.loc	1 0 41                          ; layernorm_aot.py:0:41
	s_or_b64 exec, exec, s[0:1]
	.loc	1 56 28 is_stmt 1               ; layernorm_aot.py:56:28
	v_readlane_b32 s0, v162, 12
	v_readlane_b32 s1, v162, 13
	.loc	1 57 41                         ; layernorm_aot.py:57:41
	v_mov_b32_e32 v36, 0
	.loc	1 56 28                         ; layernorm_aot.py:56:28
	s_and_b64 s[28:29], s[0:1], s[68:69]
	v_mov_b32_e32 v39, v36
	.loc	1 57 41                         ; layernorm_aot.py:57:41
	s_and_saveexec_b64 s[0:1], s[28:29]
	s_cbranch_execz .LBB0_226
; %bb.225:                              ;   in Loop: Header=BB0_188 Depth=1
	global_load_dword v39, v[6:7], off offset:2048
.LBB0_226:                              ;   in Loop: Header=BB0_188 Depth=1
	.loc	1 0 41 is_stmt 0                ; layernorm_aot.py:0:41
	s_or_b64 exec, exec, s[0:1]
	.loc	1 56 28 is_stmt 1               ; layernorm_aot.py:56:28
	v_readlane_b32 s0, v162, 12
	v_readlane_b32 s1, v162, 13
	s_and_b64 s[26:27], s[0:1], s[70:71]
	.loc	1 57 41                         ; layernorm_aot.py:57:41
	s_and_saveexec_b64 s[0:1], s[26:27]
	s_cbranch_execz .LBB0_228
; %bb.227:                              ;   in Loop: Header=BB0_188 Depth=1
	global_load_dword v36, v[6:7], off offset:3072
.LBB0_228:                              ;   in Loop: Header=BB0_188 Depth=1
	.loc	1 0 41 is_stmt 0                ; layernorm_aot.py:0:41
	s_or_b64 exec, exec, s[0:1]
	.loc	1 56 28 is_stmt 1               ; layernorm_aot.py:56:28
	v_readlane_b32 s0, v162, 14
	v_readlane_b32 s1, v162, 15
	.loc	1 57 41                         ; layernorm_aot.py:57:41
	v_mov_b32_e32 v34, 0
	.loc	1 56 28                         ; layernorm_aot.py:56:28
	s_and_b64 s[24:25], s[0:1], vcc
	v_mov_b32_e32 v37, v34
	.loc	1 57 41                         ; layernorm_aot.py:57:41
	s_and_saveexec_b64 s[0:1], s[24:25]
	s_cbranch_execz .LBB0_230
; %bb.229:                              ;   in Loop: Header=BB0_188 Depth=1
	.loc	1 57 26 is_stmt 0               ; layernorm_aot.py:57:26
	v_readlane_b32 s2, v162, 26
	v_readlane_b32 s3, v162, 27
	s_nop 1
	v_lshl_add_u64 v[6:7], v[0:1], 2, s[2:3]
	.loc	1 57 41                         ; layernorm_aot.py:57:41
	global_load_dword v37, v[6:7], off
.LBB0_230:                              ;   in Loop: Header=BB0_188 Depth=1
	.loc	1 0 41                          ; layernorm_aot.py:0:41
	s_or_b64 exec, exec, s[0:1]
	.loc	1 56 28 is_stmt 1               ; layernorm_aot.py:56:28
	v_readlane_b32 s0, v162, 14
	v_readlane_b32 s1, v162, 15
	s_and_b64 s[22:23], s[0:1], s[66:67]
	.loc	1 57 26                         ; layernorm_aot.py:57:26
	v_readlane_b32 s0, v162, 26
	v_readlane_b32 s1, v162, 27
	s_nop 1
	v_lshl_add_u64 v[6:7], v[4:5], 2, s[0:1]
	.loc	1 57 41 is_stmt 0               ; layernorm_aot.py:57:41
	s_and_saveexec_b64 s[0:1], s[22:23]
	s_cbranch_execz .LBB0_232
; %bb.231:                              ;   in Loop: Header=BB0_188 Depth=1
	global_load_dword v34, v[6:7], off offset:1024
.LBB0_232:                              ;   in Loop: Header=BB0_188 Depth=1
	.loc	1 0 41                          ; layernorm_aot.py:0:41
	s_or_b64 exec, exec, s[0:1]
	.loc	1 56 28 is_stmt 1               ; layernorm_aot.py:56:28
	v_readlane_b32 s0, v162, 14
	v_readlane_b32 s1, v162, 15
	.loc	1 57 41                         ; layernorm_aot.py:57:41
	v_mov_b32_e32 v32, 0
	.loc	1 56 28                         ; layernorm_aot.py:56:28
	s_and_b64 s[20:21], s[0:1], s[68:69]
	v_mov_b32_e32 v35, v32
	.loc	1 57 41                         ; layernorm_aot.py:57:41
	s_and_saveexec_b64 s[0:1], s[20:21]
	s_cbranch_execz .LBB0_234
; %bb.233:                              ;   in Loop: Header=BB0_188 Depth=1
	global_load_dword v35, v[6:7], off offset:2048
.LBB0_234:                              ;   in Loop: Header=BB0_188 Depth=1
	.loc	1 0 41 is_stmt 0                ; layernorm_aot.py:0:41
	s_or_b64 exec, exec, s[0:1]
	.loc	1 56 28 is_stmt 1               ; layernorm_aot.py:56:28
	v_readlane_b32 s0, v162, 14
	v_readlane_b32 s1, v162, 15
	s_and_b64 s[18:19], s[0:1], s[70:71]
	.loc	1 57 41                         ; layernorm_aot.py:57:41
	s_and_saveexec_b64 s[0:1], s[18:19]
	s_cbranch_execz .LBB0_236
; %bb.235:                              ;   in Loop: Header=BB0_188 Depth=1
	global_load_dword v32, v[6:7], off offset:3072
.LBB0_236:                              ;   in Loop: Header=BB0_188 Depth=1
	.loc	1 0 41 is_stmt 0                ; layernorm_aot.py:0:41
	s_or_b64 exec, exec, s[0:1]
	.loc	1 57 41                         ; layernorm_aot.py:57:41
	v_mov_b32_e32 v30, 0
	.loc	1 56 28 is_stmt 1               ; layernorm_aot.py:56:28
	s_and_b64 s[16:17], s[98:99], vcc
	v_mov_b32_e32 v33, v30
	.loc	1 57 41                         ; layernorm_aot.py:57:41
	s_and_saveexec_b64 s[0:1], s[16:17]
	s_cbranch_execz .LBB0_238
; %bb.237:                              ;   in Loop: Header=BB0_188 Depth=1
	.loc	1 57 26 is_stmt 0               ; layernorm_aot.py:57:26
	v_readlane_b32 s2, v162, 28
	v_readlane_b32 s3, v162, 29
	s_nop 1
	v_lshl_add_u64 v[6:7], v[0:1], 2, s[2:3]
	.loc	1 57 41                         ; layernorm_aot.py:57:41
	global_load_dword v33, v[6:7], off
.LBB0_238:                              ;   in Loop: Header=BB0_188 Depth=1
	.loc	1 0 41                          ; layernorm_aot.py:0:41
	s_or_b64 exec, exec, s[0:1]
	.loc	1 57 26                         ; layernorm_aot.py:57:26
	v_readlane_b32 s0, v162, 28
	v_readlane_b32 s1, v162, 29
	.loc	1 56 28 is_stmt 1               ; layernorm_aot.py:56:28
	s_and_b64 s[14:15], s[98:99], s[66:67]
	.loc	1 57 26                         ; layernorm_aot.py:57:26
	s_nop 0
	v_lshl_add_u64 v[6:7], v[4:5], 2, s[0:1]
	.loc	1 57 41 is_stmt 0               ; layernorm_aot.py:57:41
	s_and_saveexec_b64 s[0:1], s[14:15]
	s_cbranch_execz .LBB0_240
; %bb.239:                              ;   in Loop: Header=BB0_188 Depth=1
	global_load_dword v30, v[6:7], off offset:1024
.LBB0_240:                              ;   in Loop: Header=BB0_188 Depth=1
	.loc	1 0 41                          ; layernorm_aot.py:0:41
	s_or_b64 exec, exec, s[0:1]
	.loc	1 57 41                         ; layernorm_aot.py:57:41
	v_mov_b32_e32 v28, 0
	.loc	1 56 28 is_stmt 1               ; layernorm_aot.py:56:28
	s_and_b64 s[12:13], s[98:99], s[68:69]
	v_mov_b32_e32 v31, v28
	.loc	1 57 41                         ; layernorm_aot.py:57:41
	s_and_saveexec_b64 s[0:1], s[12:13]
	s_cbranch_execz .LBB0_242
; %bb.241:                              ;   in Loop: Header=BB0_188 Depth=1
	global_load_dword v31, v[6:7], off offset:2048
.LBB0_242:                              ;   in Loop: Header=BB0_188 Depth=1
	.loc	1 0 41 is_stmt 0                ; layernorm_aot.py:0:41
	s_or_b64 exec, exec, s[0:1]
	.loc	1 56 28 is_stmt 1               ; layernorm_aot.py:56:28
	s_and_b64 s[10:11], s[98:99], s[70:71]
	.loc	1 57 41                         ; layernorm_aot.py:57:41
	s_and_saveexec_b64 s[0:1], s[10:11]
	s_cbranch_execz .LBB0_244
; %bb.243:                              ;   in Loop: Header=BB0_188 Depth=1
	global_load_dword v28, v[6:7], off offset:3072
.LBB0_244:                              ;   in Loop: Header=BB0_188 Depth=1
	.loc	1 0 41 is_stmt 0                ; layernorm_aot.py:0:41
	s_or_b64 exec, exec, s[0:1]
	.loc	1 57 41                         ; layernorm_aot.py:57:41
	v_mov_b32_e32 v26, 0
	.loc	1 56 28 is_stmt 1               ; layernorm_aot.py:56:28
	s_and_b64 s[8:9], s[78:79], vcc
	v_mov_b32_e32 v29, v26
	.loc	1 57 41                         ; layernorm_aot.py:57:41
	s_and_saveexec_b64 s[0:1], s[8:9]
	s_cbranch_execz .LBB0_246
; %bb.245:                              ;   in Loop: Header=BB0_188 Depth=1
	.loc	1 57 26 is_stmt 0               ; layernorm_aot.py:57:26
	v_readlane_b32 s2, v162, 30
	v_readlane_b32 s3, v162, 31
	s_nop 1
	v_lshl_add_u64 v[6:7], v[0:1], 2, s[2:3]
	.loc	1 57 41                         ; layernorm_aot.py:57:41
	global_load_dword v29, v[6:7], off
.LBB0_246:                              ;   in Loop: Header=BB0_188 Depth=1
	.loc	1 0 41                          ; layernorm_aot.py:0:41
	s_or_b64 exec, exec, s[0:1]
	.loc	1 57 26                         ; layernorm_aot.py:57:26
	v_readlane_b32 s0, v162, 30
	v_readlane_b32 s1, v162, 31
	.loc	1 56 28 is_stmt 1               ; layernorm_aot.py:56:28
	s_and_b64 s[4:5], s[78:79], s[66:67]
	.loc	1 57 26                         ; layernorm_aot.py:57:26
	s_nop 0
	v_lshl_add_u64 v[6:7], v[4:5], 2, s[0:1]
	.loc	1 57 41 is_stmt 0               ; layernorm_aot.py:57:41
	s_and_saveexec_b64 s[0:1], s[4:5]
	s_cbranch_execz .LBB0_248
; %bb.247:                              ;   in Loop: Header=BB0_188 Depth=1
	global_load_dword v26, v[6:7], off offset:1024
.LBB0_248:                              ;   in Loop: Header=BB0_188 Depth=1
	.loc	1 0 41                          ; layernorm_aot.py:0:41
	s_or_b64 exec, exec, s[0:1]
	.loc	1 57 41                         ; layernorm_aot.py:57:41
	v_mov_b32_e32 v25, 0
	.loc	1 56 28 is_stmt 1               ; layernorm_aot.py:56:28
	s_and_b64 s[2:3], s[78:79], s[68:69]
	v_mov_b32_e32 v27, v25
	.loc	1 57 41                         ; layernorm_aot.py:57:41
	s_and_saveexec_b64 s[0:1], s[2:3]
	s_cbranch_execz .LBB0_250
; %bb.249:                              ;   in Loop: Header=BB0_188 Depth=1
	global_load_dword v27, v[6:7], off offset:2048
.LBB0_250:                              ;   in Loop: Header=BB0_188 Depth=1
	.loc	1 0 41 is_stmt 0                ; layernorm_aot.py:0:41
	s_or_b64 exec, exec, s[0:1]
	.loc	1 56 28 is_stmt 1               ; layernorm_aot.py:56:28
	s_and_b64 s[0:1], s[78:79], s[70:71]
	.loc	1 57 41                         ; layernorm_aot.py:57:41
	s_and_saveexec_b64 s[94:95], s[0:1]
	s_cbranch_execz .LBB0_252
; %bb.251:                              ;   in Loop: Header=BB0_188 Depth=1
	global_load_dword v25, v[6:7], off offset:3072
.LBB0_252:                              ;   in Loop: Header=BB0_188 Depth=1
	.loc	1 0 41 is_stmt 0                ; layernorm_aot.py:0:41
	s_or_b64 exec, exec, s[94:95]
	.loc	1 58 39 is_stmt 1               ; layernorm_aot.py:58:39
	v_mov_b32_e32 v90, 0
	v_mov_b32_e32 v92, v90
	s_and_saveexec_b64 s[94:95], s[92:93]
	s_cbranch_execz .LBB0_254
; %bb.253:                              ;   in Loop: Header=BB0_188 Depth=1
	.loc	1 0 39 is_stmt 0                ; layernorm_aot.py:0:39
	v_readlane_b32 s80, v162, 34
	v_readlane_b32 s81, v162, 35
	s_nop 1
	v_lshl_add_u64 v[6:7], v[0:1], 2, s[80:81]
	.loc	1 58 39                         ; layernorm_aot.py:58:39
	global_load_dword v92, v[6:7], off
.LBB0_254:                              ;   in Loop: Header=BB0_188 Depth=1
	.loc	1 0 39                          ; layernorm_aot.py:0:39
	s_or_b64 exec, exec, s[94:95]
	.loc	1 58 24                         ; layernorm_aot.py:58:24
	v_readlane_b32 s80, v162, 34
	v_readlane_b32 s81, v162, 35
	s_nop 1
	v_lshl_add_u64 v[6:7], v[4:5], 2, s[80:81]
	.loc	1 58 39                         ; layernorm_aot.py:58:39
	s_and_saveexec_b64 s[94:95], s[64:65]
	s_cbranch_execz .LBB0_256
; %bb.255:                              ;   in Loop: Header=BB0_188 Depth=1
	global_load_dword v90, v[6:7], off offset:1024
.LBB0_256:                              ;   in Loop: Header=BB0_188 Depth=1
	.loc	1 0 39                          ; layernorm_aot.py:0:39
	s_or_b64 exec, exec, s[94:95]
	.loc	1 58 39                         ; layernorm_aot.py:58:39
	v_mov_b32_e32 v89, 0
	v_mov_b32_e32 v91, v89
	s_and_saveexec_b64 s[94:95], s[62:63]
	s_cbranch_execz .LBB0_258
; %bb.257:                              ;   in Loop: Header=BB0_188 Depth=1
	global_load_dword v91, v[6:7], off offset:2048
.LBB0_258:                              ;   in Loop: Header=BB0_188 Depth=1
	.loc	1 0 39                          ; layernorm_aot.py:0:39
	s_or_b64 exec, exec, s[94:95]
	.loc	1 58 39                         ; layernorm_aot.py:58:39
	s_and_saveexec_b64 s[94:95], s[60:61]
	s_cbranch_execz .LBB0_260
; %bb.259:                              ;   in Loop: Header=BB0_188 Depth=1
	global_load_dword v89, v[6:7], off offset:3072
.LBB0_260:                              ;   in Loop: Header=BB0_188 Depth=1
	.loc	1 0 39                          ; layernorm_aot.py:0:39
	s_or_b64 exec, exec, s[94:95]
	.loc	1 58 39                         ; layernorm_aot.py:58:39
	v_mov_b32_e32 v86, 0
	v_mov_b32_e32 v88, v86
	s_and_saveexec_b64 s[94:95], s[58:59]
	s_cbranch_execz .LBB0_262
; %bb.261:                              ;   in Loop: Header=BB0_188 Depth=1
	.loc	1 58 24                         ; layernorm_aot.py:58:24
	v_readlane_b32 s80, v162, 38
	v_readlane_b32 s81, v162, 39
	s_nop 1
	v_lshl_add_u64 v[6:7], v[0:1], 2, s[80:81]
	.loc	1 58 39                         ; layernorm_aot.py:58:39
	global_load_dword v88, v[6:7], off
.LBB0_262:                              ;   in Loop: Header=BB0_188 Depth=1
	.loc	1 0 39                          ; layernorm_aot.py:0:39
	s_or_b64 exec, exec, s[94:95]
	.loc	1 58 24                         ; layernorm_aot.py:58:24
	v_readlane_b32 s80, v162, 38
	v_readlane_b32 s81, v162, 39
	s_nop 1
	v_lshl_add_u64 v[6:7], v[4:5], 2, s[80:81]
	.loc	1 58 39                         ; layernorm_aot.py:58:39
	s_and_saveexec_b64 s[94:95], s[56:57]
	s_cbranch_execz .LBB0_264
; %bb.263:                              ;   in Loop: Header=BB0_188 Depth=1
	global_load_dword v86, v[6:7], off offset:1024
.LBB0_264:                              ;   in Loop: Header=BB0_188 Depth=1
	.loc	1 0 39                          ; layernorm_aot.py:0:39
	s_or_b64 exec, exec, s[94:95]
	.loc	1 58 39                         ; layernorm_aot.py:58:39
	v_mov_b32_e32 v84, 0
	v_mov_b32_e32 v87, v84
	s_and_saveexec_b64 s[94:95], s[54:55]
	s_cbranch_execz .LBB0_266
; %bb.265:                              ;   in Loop: Header=BB0_188 Depth=1
	global_load_dword v87, v[6:7], off offset:2048
.LBB0_266:                              ;   in Loop: Header=BB0_188 Depth=1
	.loc	1 0 39                          ; layernorm_aot.py:0:39
	s_or_b64 exec, exec, s[94:95]
	.loc	1 58 39                         ; layernorm_aot.py:58:39
	s_and_saveexec_b64 s[94:95], s[52:53]
	s_cbranch_execz .LBB0_268
; %bb.267:                              ;   in Loop: Header=BB0_188 Depth=1
	global_load_dword v84, v[6:7], off offset:3072
.LBB0_268:                              ;   in Loop: Header=BB0_188 Depth=1
	.loc	1 0 39                          ; layernorm_aot.py:0:39
	s_or_b64 exec, exec, s[94:95]
	.loc	1 58 39                         ; layernorm_aot.py:58:39
	v_mov_b32_e32 v82, 0
	v_mov_b32_e32 v85, v82
	s_and_saveexec_b64 s[94:95], s[50:51]
	s_cbranch_execz .LBB0_270
; %bb.269:                              ;   in Loop: Header=BB0_188 Depth=1
	.loc	1 58 24                         ; layernorm_aot.py:58:24
	v_readlane_b32 s80, v162, 42
	v_readlane_b32 s81, v162, 43
	s_nop 1
	v_lshl_add_u64 v[6:7], v[0:1], 2, s[80:81]
	.loc	1 58 39                         ; layernorm_aot.py:58:39
	global_load_dword v85, v[6:7], off
.LBB0_270:                              ;   in Loop: Header=BB0_188 Depth=1
	;; [unrolled: 47-line block ×7, first 2 shown]
	.loc	1 0 39                          ; layernorm_aot.py:0:39
	s_or_b64 exec, exec, s[94:95]
	.loc	1 58 24                         ; layernorm_aot.py:58:24
	v_readlane_b32 s80, v162, 62
	v_readlane_b32 s81, v162, 63
	s_nop 1
	v_lshl_add_u64 v[6:7], v[4:5], 2, s[80:81]
	.loc	1 58 39                         ; layernorm_aot.py:58:39
	s_and_saveexec_b64 s[94:95], s[4:5]
	s_cbranch_execz .LBB0_312
; %bb.311:                              ;   in Loop: Header=BB0_188 Depth=1
	global_load_dword v58, v[6:7], off offset:1024
.LBB0_312:                              ;   in Loop: Header=BB0_188 Depth=1
	.loc	1 0 39                          ; layernorm_aot.py:0:39
	s_or_b64 exec, exec, s[94:95]
	.loc	1 58 39                         ; layernorm_aot.py:58:39
	v_mov_b32_e32 v57, 0
	v_mov_b32_e32 v59, v57
	s_and_saveexec_b64 s[94:95], s[2:3]
	s_cbranch_execz .LBB0_314
; %bb.313:                              ;   in Loop: Header=BB0_188 Depth=1
	global_load_dword v59, v[6:7], off offset:2048
.LBB0_314:                              ;   in Loop: Header=BB0_188 Depth=1
	.loc	1 0 39                          ; layernorm_aot.py:0:39
	s_or_b64 exec, exec, s[94:95]
	.loc	1 58 39                         ; layernorm_aot.py:58:39
	s_and_saveexec_b64 s[94:95], s[0:1]
	s_cbranch_execz .LBB0_316
; %bb.315:                              ;   in Loop: Header=BB0_188 Depth=1
	global_load_dword v57, v[6:7], off offset:3072
.LBB0_316:                              ;   in Loop: Header=BB0_188 Depth=1
	.loc	1 0 39                          ; layernorm_aot.py:0:39
	s_or_b64 exec, exec, s[94:95]
	.loc	1 62 24 is_stmt 1               ; layernorm_aot.py:62:24
	v_mov_b32_e32 v61, 0
	v_mov_b32_e32 v67, v61
	s_and_saveexec_b64 s[94:95], vcc
	s_cbranch_execz .LBB0_318
; %bb.317:                              ;   in Loop: Header=BB0_188 Depth=1
	.loc	1 0 24 is_stmt 0                ; layernorm_aot.py:0:24
	v_readlane_b32 s80, v162, 0
	v_readlane_b32 s81, v162, 1
	s_nop 1
	v_lshl_add_u64 v[6:7], v[0:1], 2, s[80:81]
	.loc	1 62 24                         ; layernorm_aot.py:62:24
	global_load_dword v67, v[6:7], off
.LBB0_318:                              ;   in Loop: Header=BB0_188 Depth=1
	.loc	1 0 24                          ; layernorm_aot.py:0:24
	s_or_b64 exec, exec, s[94:95]
	.loc	1 62 28                         ; layernorm_aot.py:62:28
	v_readlane_b32 s80, v162, 0
	v_readlane_b32 s81, v162, 1
	s_nop 1
	v_lshl_add_u64 v[6:7], v[4:5], 2, s[80:81]
	.loc	1 62 24                         ; layernorm_aot.py:62:24
	s_and_saveexec_b64 s[94:95], s[66:67]
	s_cbranch_execz .LBB0_320
; %bb.319:                              ;   in Loop: Header=BB0_188 Depth=1
	global_load_dword v61, v[6:7], off offset:1024
.LBB0_320:                              ;   in Loop: Header=BB0_188 Depth=1
	.loc	1 0 24                          ; layernorm_aot.py:0:24
	s_or_b64 exec, exec, s[94:95]
	.loc	1 62 24                         ; layernorm_aot.py:62:24
	v_mov_b32_e32 v60, 0
	v_mov_b32_e32 v64, v60
	s_and_saveexec_b64 s[66:67], s[68:69]
	s_cbranch_execnz .LBB0_361
; %bb.321:                              ;   in Loop: Header=BB0_188 Depth=1
	.loc	1 0 24                          ; layernorm_aot.py:0:24
	s_or_b64 exec, exec, s[66:67]
	.loc	1 62 24                         ; layernorm_aot.py:62:24
	s_and_saveexec_b64 s[66:67], s[70:71]
	s_cbranch_execnz .LBB0_362
.LBB0_322:                              ;   in Loop: Header=BB0_188 Depth=1
	.loc	1 0 24                          ; layernorm_aot.py:0:24
	s_or_b64 exec, exec, s[66:67]
	.loc	1 67 28 is_stmt 1               ; layernorm_aot.py:67:28
	s_and_saveexec_b64 s[66:67], s[92:93]
	s_cbranch_execnz .LBB0_363
.LBB0_323:                              ;   in Loop: Header=BB0_188 Depth=1
	.loc	1 0 28 is_stmt 0                ; layernorm_aot.py:0:28
	s_or_b64 exec, exec, s[66:67]
	.loc	1 67 22                         ; layernorm_aot.py:67:22
	v_lshl_add_u64 v[6:7], v[4:5], 2, s[74:75]
	.loc	1 67 28                         ; layernorm_aot.py:67:28
	s_and_saveexec_b64 s[66:67], s[64:65]
	s_cbranch_execnz .LBB0_364
.LBB0_324:                              ;   in Loop: Header=BB0_188 Depth=1
	.loc	1 0 28                          ; layernorm_aot.py:0:28
	s_or_b64 exec, exec, s[66:67]
	.loc	1 67 28                         ; layernorm_aot.py:67:28
	s_and_saveexec_b64 s[64:65], s[62:63]
	s_cbranch_execnz .LBB0_365
.LBB0_325:                              ;   in Loop: Header=BB0_188 Depth=1
	.loc	1 0 28                          ; layernorm_aot.py:0:28
	s_or_b64 exec, exec, s[64:65]
	.loc	1 67 28                         ; layernorm_aot.py:67:28
	s_and_saveexec_b64 s[62:63], s[60:61]
	s_cbranch_execnz .LBB0_366
.LBB0_326:                              ;   in Loop: Header=BB0_188 Depth=1
	.loc	1 0 28                          ; layernorm_aot.py:0:28
	s_or_b64 exec, exec, s[62:63]
	.loc	1 67 28                         ; layernorm_aot.py:67:28
	s_and_saveexec_b64 s[60:61], s[58:59]
	s_cbranch_execz .LBB0_328
.LBB0_327:                              ;   in Loop: Header=BB0_188 Depth=1
	.loc	1 63 31 is_stmt 1               ; layernorm_aot.py:63:31
	v_readlane_b32 s62, v162, 4
	v_readlane_b32 s63, v162, 5
	s_waitcnt vmcnt(0)
	s_nop 0
	v_subrev_f32_e32 v6, s63, v88
	.loc	1 63 37 is_stmt 0               ; layernorm_aot.py:63:37
	v_cndmask_b32_e64 v6, 0, v6, s[58:59]
	.loc	1 64 20 is_stmt 1               ; layernorm_aot.py:64:20
	v_mul_f32_e32 v6, s7, v6
	.loc	1 66 38                         ; layernorm_aot.py:66:38
	s_waitcnt lgkmcnt(6)
	v_fma_f32 v6, v9, v6, v13
	.loc	1 66 54 is_stmt 0               ; layernorm_aot.py:66:54
	v_div_scale_f32 v7, s[58:59], v24, v24, v6
	v_rcp_f32_e32 v52, v7
	v_div_scale_f32 v54, vcc, v6, v24, v6
	.loc	1 67 22 is_stmt 1               ; layernorm_aot.py:67:22
	v_readlane_b32 s58, v143, 0
	.loc	1 66 54                         ; layernorm_aot.py:66:54
	v_fma_f32 v55, -v7, v52, 1.0
	v_fmac_f32_e32 v52, v55, v52
	v_mul_f32_e32 v55, v54, v52
	v_fma_f32 v56, -v7, v55, v54
	v_fmac_f32_e32 v55, v56, v52
	v_fma_f32 v7, -v7, v55, v54
	v_div_fmas_f32 v7, v7, v52, v55
	v_div_fixup_f32 v6, v7, v24, v6
	.loc	1 66 30 is_stmt 0               ; layernorm_aot.py:66:30
	v_fma_f32 v6, v53, v67, -v6
	.loc	1 67 22 is_stmt 1               ; layernorm_aot.py:67:22
	v_readlane_b32 s59, v143, 1
	.loc	1 66 21                         ; layernorm_aot.py:66:21
	v_mul_f32_e32 v52, s7, v6
	.loc	1 67 22                         ; layernorm_aot.py:67:22
	s_nop 0
	v_lshl_add_u64 v[6:7], v[0:1], 2, s[58:59]
	.loc	1 67 28 is_stmt 0               ; layernorm_aot.py:67:28
	global_store_dword v[6:7], v52, off
.LBB0_328:                              ;   in Loop: Header=BB0_188 Depth=1
	.loc	1 0 28                          ; layernorm_aot.py:0:28
	s_or_b64 exec, exec, s[60:61]
	.loc	1 67 22                         ; layernorm_aot.py:67:22
	v_readlane_b32 s58, v143, 0
	v_readlane_b32 s59, v143, 1
	s_nop 1
	v_lshl_add_u64 v[6:7], v[4:5], 2, s[58:59]
	.loc	1 67 28                         ; layernorm_aot.py:67:28
	s_and_saveexec_b64 s[58:59], s[56:57]
	s_cbranch_execnz .LBB0_367
; %bb.329:                              ;   in Loop: Header=BB0_188 Depth=1
	.loc	1 0 28                          ; layernorm_aot.py:0:28
	s_or_b64 exec, exec, s[58:59]
	.loc	1 67 28                         ; layernorm_aot.py:67:28
	s_and_saveexec_b64 s[56:57], s[54:55]
	s_cbranch_execnz .LBB0_368
.LBB0_330:                              ;   in Loop: Header=BB0_188 Depth=1
	.loc	1 0 28                          ; layernorm_aot.py:0:28
	s_or_b64 exec, exec, s[56:57]
	.loc	1 67 28                         ; layernorm_aot.py:67:28
	s_and_saveexec_b64 s[54:55], s[52:53]
	s_cbranch_execnz .LBB0_369
.LBB0_331:                              ;   in Loop: Header=BB0_188 Depth=1
	.loc	1 0 28                          ; layernorm_aot.py:0:28
	s_or_b64 exec, exec, s[54:55]
	.loc	1 67 28                         ; layernorm_aot.py:67:28
	s_and_saveexec_b64 s[52:53], s[50:51]
	s_cbranch_execz .LBB0_333
.LBB0_332:                              ;   in Loop: Header=BB0_188 Depth=1
	.loc	1 63 31 is_stmt 1               ; layernorm_aot.py:63:31
	s_waitcnt vmcnt(0)
	v_subrev_f32_e32 v6, s84, v85
	.loc	1 63 37 is_stmt 0               ; layernorm_aot.py:63:37
	v_cndmask_b32_e64 v6, 0, v6, s[50:51]
	.loc	1 64 20 is_stmt 1               ; layernorm_aot.py:64:20
	v_mul_f32_e32 v6, s82, v6
	.loc	1 66 38                         ; layernorm_aot.py:66:38
	s_waitcnt lgkmcnt(5)
	v_fma_f32 v6, v10, v6, v14
	.loc	1 66 54 is_stmt 0               ; layernorm_aot.py:66:54
	v_div_scale_f32 v7, s[50:51], v24, v24, v6
	v_rcp_f32_e32 v48, v7
	v_div_scale_f32 v50, vcc, v6, v24, v6
	.loc	1 67 22 is_stmt 1               ; layernorm_aot.py:67:22
	v_readlane_b32 s50, v162, 32
	.loc	1 66 54                         ; layernorm_aot.py:66:54
	v_fma_f32 v51, -v7, v48, 1.0
	v_fmac_f32_e32 v48, v51, v48
	v_mul_f32_e32 v51, v50, v48
	v_fma_f32 v52, -v7, v51, v50
	v_fmac_f32_e32 v51, v52, v48
	v_fma_f32 v7, -v7, v51, v50
	v_div_fmas_f32 v7, v7, v48, v51
	v_div_fixup_f32 v6, v7, v24, v6
	.loc	1 66 30 is_stmt 0               ; layernorm_aot.py:66:30
	v_fma_f32 v6, v49, v67, -v6
	.loc	1 67 22 is_stmt 1               ; layernorm_aot.py:67:22
	v_readlane_b32 s51, v162, 33
	.loc	1 66 21                         ; layernorm_aot.py:66:21
	v_mul_f32_e32 v48, s82, v6
	.loc	1 67 22                         ; layernorm_aot.py:67:22
	s_nop 0
	v_lshl_add_u64 v[6:7], v[0:1], 2, s[50:51]
	.loc	1 67 28 is_stmt 0               ; layernorm_aot.py:67:28
	global_store_dword v[6:7], v48, off
.LBB0_333:                              ;   in Loop: Header=BB0_188 Depth=1
	.loc	1 0 28                          ; layernorm_aot.py:0:28
	s_or_b64 exec, exec, s[52:53]
	.loc	1 67 22                         ; layernorm_aot.py:67:22
	v_readlane_b32 s50, v162, 32
	v_readlane_b32 s51, v162, 33
	s_nop 1
	v_lshl_add_u64 v[6:7], v[4:5], 2, s[50:51]
	.loc	1 67 28                         ; layernorm_aot.py:67:28
	s_and_saveexec_b64 s[50:51], s[48:49]
	s_cbranch_execnz .LBB0_370
; %bb.334:                              ;   in Loop: Header=BB0_188 Depth=1
	.loc	1 0 28                          ; layernorm_aot.py:0:28
	s_or_b64 exec, exec, s[50:51]
	.loc	1 67 28                         ; layernorm_aot.py:67:28
	s_and_saveexec_b64 s[48:49], s[46:47]
	s_cbranch_execnz .LBB0_371
.LBB0_335:                              ;   in Loop: Header=BB0_188 Depth=1
	.loc	1 0 28                          ; layernorm_aot.py:0:28
	s_or_b64 exec, exec, s[48:49]
	.loc	1 67 28                         ; layernorm_aot.py:67:28
	s_and_saveexec_b64 s[46:47], s[44:45]
	s_cbranch_execnz .LBB0_372
.LBB0_336:                              ;   in Loop: Header=BB0_188 Depth=1
	.loc	1 0 28                          ; layernorm_aot.py:0:28
	s_or_b64 exec, exec, s[46:47]
	.loc	1 67 28                         ; layernorm_aot.py:67:28
	s_and_saveexec_b64 s[44:45], s[42:43]
	s_cbranch_execz .LBB0_338
.LBB0_337:                              ;   in Loop: Header=BB0_188 Depth=1
	.loc	1 63 31 is_stmt 1               ; layernorm_aot.py:63:31
	s_waitcnt vmcnt(0)
	v_subrev_f32_e32 v6, s85, v81
	.loc	1 63 37 is_stmt 0               ; layernorm_aot.py:63:37
	v_cndmask_b32_e64 v6, 0, v6, s[42:43]
	.loc	1 64 20 is_stmt 1               ; layernorm_aot.py:64:20
	v_mul_f32_e32 v6, s83, v6
	.loc	1 66 38                         ; layernorm_aot.py:66:38
	s_waitcnt lgkmcnt(4)
	v_fma_f32 v6, v11, v6, v15
	.loc	1 66 54 is_stmt 0               ; layernorm_aot.py:66:54
	v_div_scale_f32 v7, s[42:43], v24, v24, v6
	v_rcp_f32_e32 v44, v7
	v_div_scale_f32 v46, vcc, v6, v24, v6
	.loc	1 67 22 is_stmt 1               ; layernorm_aot.py:67:22
	v_readlane_b32 s42, v162, 36
	.loc	1 66 54                         ; layernorm_aot.py:66:54
	v_fma_f32 v47, -v7, v44, 1.0
	v_fmac_f32_e32 v44, v47, v44
	v_mul_f32_e32 v47, v46, v44
	v_fma_f32 v48, -v7, v47, v46
	v_fmac_f32_e32 v47, v48, v44
	v_fma_f32 v7, -v7, v47, v46
	v_div_fmas_f32 v7, v7, v44, v47
	v_div_fixup_f32 v6, v7, v24, v6
	.loc	1 66 30 is_stmt 0               ; layernorm_aot.py:66:30
	v_fma_f32 v6, v45, v67, -v6
	.loc	1 67 22 is_stmt 1               ; layernorm_aot.py:67:22
	v_readlane_b32 s43, v162, 37
	.loc	1 66 21                         ; layernorm_aot.py:66:21
	v_mul_f32_e32 v44, s83, v6
	.loc	1 67 22                         ; layernorm_aot.py:67:22
	s_nop 0
	v_lshl_add_u64 v[6:7], v[0:1], 2, s[42:43]
	.loc	1 67 28 is_stmt 0               ; layernorm_aot.py:67:28
	global_store_dword v[6:7], v44, off
.LBB0_338:                              ;   in Loop: Header=BB0_188 Depth=1
	.loc	1 0 28                          ; layernorm_aot.py:0:28
	s_or_b64 exec, exec, s[44:45]
	.loc	1 67 22                         ; layernorm_aot.py:67:22
	v_readlane_b32 s42, v162, 36
	v_readlane_b32 s43, v162, 37
	s_nop 1
	v_lshl_add_u64 v[6:7], v[4:5], 2, s[42:43]
	.loc	1 67 28                         ; layernorm_aot.py:67:28
	s_and_saveexec_b64 s[42:43], s[40:41]
	s_cbranch_execnz .LBB0_373
; %bb.339:                              ;   in Loop: Header=BB0_188 Depth=1
	.loc	1 0 28                          ; layernorm_aot.py:0:28
	s_or_b64 exec, exec, s[42:43]
	.loc	1 67 28                         ; layernorm_aot.py:67:28
	s_and_saveexec_b64 s[40:41], s[38:39]
	s_cbranch_execnz .LBB0_374
.LBB0_340:                              ;   in Loop: Header=BB0_188 Depth=1
	.loc	1 0 28                          ; layernorm_aot.py:0:28
	s_or_b64 exec, exec, s[40:41]
	.loc	1 67 28                         ; layernorm_aot.py:67:28
	s_and_saveexec_b64 s[38:39], s[36:37]
	s_cbranch_execnz .LBB0_375
.LBB0_341:                              ;   in Loop: Header=BB0_188 Depth=1
	.loc	1 0 28                          ; layernorm_aot.py:0:28
	s_or_b64 exec, exec, s[38:39]
	.loc	1 67 28                         ; layernorm_aot.py:67:28
	s_and_saveexec_b64 s[36:37], s[34:35]
	s_cbranch_execz .LBB0_343
.LBB0_342:                              ;   in Loop: Header=BB0_188 Depth=1
	.loc	1 63 31 is_stmt 1               ; layernorm_aot.py:63:31
	s_waitcnt vmcnt(0)
	v_subrev_f32_e32 v6, s90, v77
	.loc	1 63 37 is_stmt 0               ; layernorm_aot.py:63:37
	v_cndmask_b32_e64 v6, 0, v6, s[34:35]
	.loc	1 64 20 is_stmt 1               ; layernorm_aot.py:64:20
	v_mul_f32_e32 v6, s86, v6
	.loc	1 66 38                         ; layernorm_aot.py:66:38
	s_waitcnt lgkmcnt(3)
	v_fma_f32 v6, v20, v6, v16
	.loc	1 66 54 is_stmt 0               ; layernorm_aot.py:66:54
	v_div_scale_f32 v7, s[34:35], v24, v24, v6
	v_rcp_f32_e32 v40, v7
	v_div_scale_f32 v42, vcc, v6, v24, v6
	.loc	1 67 22 is_stmt 1               ; layernorm_aot.py:67:22
	v_readlane_b32 s34, v162, 40
	.loc	1 66 54                         ; layernorm_aot.py:66:54
	v_fma_f32 v43, -v7, v40, 1.0
	v_fmac_f32_e32 v40, v43, v40
	v_mul_f32_e32 v43, v42, v40
	v_fma_f32 v44, -v7, v43, v42
	v_fmac_f32_e32 v43, v44, v40
	v_fma_f32 v7, -v7, v43, v42
	v_div_fmas_f32 v7, v7, v40, v43
	v_div_fixup_f32 v6, v7, v24, v6
	.loc	1 66 30 is_stmt 0               ; layernorm_aot.py:66:30
	v_fma_f32 v6, v41, v67, -v6
	.loc	1 67 22 is_stmt 1               ; layernorm_aot.py:67:22
	v_readlane_b32 s35, v162, 41
	.loc	1 66 21                         ; layernorm_aot.py:66:21
	v_mul_f32_e32 v40, s86, v6
	.loc	1 67 22                         ; layernorm_aot.py:67:22
	s_nop 0
	v_lshl_add_u64 v[6:7], v[0:1], 2, s[34:35]
	.loc	1 67 28 is_stmt 0               ; layernorm_aot.py:67:28
	global_store_dword v[6:7], v40, off
.LBB0_343:                              ;   in Loop: Header=BB0_188 Depth=1
	.loc	1 0 28                          ; layernorm_aot.py:0:28
	s_or_b64 exec, exec, s[36:37]
	.loc	1 67 22                         ; layernorm_aot.py:67:22
	v_readlane_b32 s34, v162, 40
	v_readlane_b32 s35, v162, 41
	s_nop 1
	v_lshl_add_u64 v[6:7], v[4:5], 2, s[34:35]
	.loc	1 67 28                         ; layernorm_aot.py:67:28
	s_and_saveexec_b64 s[34:35], s[30:31]
	s_cbranch_execnz .LBB0_376
; %bb.344:                              ;   in Loop: Header=BB0_188 Depth=1
	.loc	1 0 28                          ; layernorm_aot.py:0:28
	s_or_b64 exec, exec, s[34:35]
	.loc	1 67 28                         ; layernorm_aot.py:67:28
	s_and_saveexec_b64 s[30:31], s[28:29]
	s_cbranch_execnz .LBB0_377
.LBB0_345:                              ;   in Loop: Header=BB0_188 Depth=1
	.loc	1 0 28                          ; layernorm_aot.py:0:28
	s_or_b64 exec, exec, s[30:31]
	.loc	1 67 28                         ; layernorm_aot.py:67:28
	s_and_saveexec_b64 s[28:29], s[26:27]
	s_cbranch_execnz .LBB0_378
.LBB0_346:                              ;   in Loop: Header=BB0_188 Depth=1
	.loc	1 0 28                          ; layernorm_aot.py:0:28
	s_or_b64 exec, exec, s[28:29]
	.loc	1 67 28                         ; layernorm_aot.py:67:28
	s_and_saveexec_b64 s[26:27], s[24:25]
	s_cbranch_execz .LBB0_348
.LBB0_347:                              ;   in Loop: Header=BB0_188 Depth=1
	.loc	1 63 31 is_stmt 1               ; layernorm_aot.py:63:31
	s_waitcnt vmcnt(0)
	v_subrev_f32_e32 v6, s91, v73
	.loc	1 63 37 is_stmt 0               ; layernorm_aot.py:63:37
	v_cndmask_b32_e64 v6, 0, v6, s[24:25]
	.loc	1 64 20 is_stmt 1               ; layernorm_aot.py:64:20
	v_mul_f32_e32 v6, s87, v6
	.loc	1 66 38                         ; layernorm_aot.py:66:38
	s_waitcnt lgkmcnt(2)
	v_fma_f32 v6, v21, v6, v17
	.loc	1 66 54 is_stmt 0               ; layernorm_aot.py:66:54
	v_div_scale_f32 v7, s[24:25], v24, v24, v6
	v_rcp_f32_e32 v36, v7
	v_div_scale_f32 v38, vcc, v6, v24, v6
	.loc	1 67 22 is_stmt 1               ; layernorm_aot.py:67:22
	v_readlane_b32 s24, v162, 44
	.loc	1 66 54                         ; layernorm_aot.py:66:54
	v_fma_f32 v39, -v7, v36, 1.0
	v_fmac_f32_e32 v36, v39, v36
	v_mul_f32_e32 v39, v38, v36
	v_fma_f32 v40, -v7, v39, v38
	v_fmac_f32_e32 v39, v40, v36
	v_fma_f32 v7, -v7, v39, v38
	v_div_fmas_f32 v7, v7, v36, v39
	v_div_fixup_f32 v6, v7, v24, v6
	.loc	1 66 30 is_stmt 0               ; layernorm_aot.py:66:30
	v_fma_f32 v6, v37, v67, -v6
	.loc	1 67 22 is_stmt 1               ; layernorm_aot.py:67:22
	v_readlane_b32 s25, v162, 45
	.loc	1 66 21                         ; layernorm_aot.py:66:21
	v_mul_f32_e32 v36, s87, v6
	.loc	1 67 22                         ; layernorm_aot.py:67:22
	s_nop 0
	v_lshl_add_u64 v[6:7], v[0:1], 2, s[24:25]
	.loc	1 67 28 is_stmt 0               ; layernorm_aot.py:67:28
	global_store_dword v[6:7], v36, off
.LBB0_348:                              ;   in Loop: Header=BB0_188 Depth=1
	.loc	1 0 28                          ; layernorm_aot.py:0:28
	s_or_b64 exec, exec, s[26:27]
	.loc	1 67 22                         ; layernorm_aot.py:67:22
	v_readlane_b32 s24, v162, 44
	v_readlane_b32 s25, v162, 45
	s_nop 1
	v_lshl_add_u64 v[6:7], v[4:5], 2, s[24:25]
	.loc	1 67 28                         ; layernorm_aot.py:67:28
	s_and_saveexec_b64 s[24:25], s[22:23]
	s_cbranch_execnz .LBB0_379
; %bb.349:                              ;   in Loop: Header=BB0_188 Depth=1
	.loc	1 0 28                          ; layernorm_aot.py:0:28
	s_or_b64 exec, exec, s[24:25]
	.loc	1 67 28                         ; layernorm_aot.py:67:28
	s_and_saveexec_b64 s[22:23], s[20:21]
	s_cbranch_execnz .LBB0_380
.LBB0_350:                              ;   in Loop: Header=BB0_188 Depth=1
	.loc	1 0 28                          ; layernorm_aot.py:0:28
	s_or_b64 exec, exec, s[22:23]
	.loc	1 67 28                         ; layernorm_aot.py:67:28
	s_and_saveexec_b64 s[20:21], s[18:19]
	s_cbranch_execnz .LBB0_381
.LBB0_351:                              ;   in Loop: Header=BB0_188 Depth=1
	.loc	1 0 28                          ; layernorm_aot.py:0:28
	s_or_b64 exec, exec, s[20:21]
	.loc	1 67 28                         ; layernorm_aot.py:67:28
	s_and_saveexec_b64 s[18:19], s[16:17]
	s_cbranch_execz .LBB0_353
.LBB0_352:                              ;   in Loop: Header=BB0_188 Depth=1
	.loc	1 63 31 is_stmt 1               ; layernorm_aot.py:63:31
	s_waitcnt vmcnt(0)
	v_subrev_f32_e32 v6, s96, v69
	.loc	1 63 37 is_stmt 0               ; layernorm_aot.py:63:37
	v_cndmask_b32_e64 v6, 0, v6, s[16:17]
	.loc	1 64 20 is_stmt 1               ; layernorm_aot.py:64:20
	v_mul_f32_e32 v6, s88, v6
	.loc	1 66 38                         ; layernorm_aot.py:66:38
	s_waitcnt lgkmcnt(1)
	v_fma_f32 v6, v22, v6, v18
	.loc	1 66 54 is_stmt 0               ; layernorm_aot.py:66:54
	v_div_scale_f32 v7, s[16:17], v24, v24, v6
	v_rcp_f32_e32 v32, v7
	v_div_scale_f32 v34, vcc, v6, v24, v6
	.loc	1 67 22 is_stmt 1               ; layernorm_aot.py:67:22
	v_readlane_b32 s16, v162, 48
	.loc	1 66 54                         ; layernorm_aot.py:66:54
	v_fma_f32 v35, -v7, v32, 1.0
	v_fmac_f32_e32 v32, v35, v32
	v_mul_f32_e32 v35, v34, v32
	v_fma_f32 v36, -v7, v35, v34
	v_fmac_f32_e32 v35, v36, v32
	v_fma_f32 v7, -v7, v35, v34
	v_div_fmas_f32 v7, v7, v32, v35
	v_div_fixup_f32 v6, v7, v24, v6
	.loc	1 66 30 is_stmt 0               ; layernorm_aot.py:66:30
	v_fma_f32 v6, v33, v67, -v6
	.loc	1 67 22 is_stmt 1               ; layernorm_aot.py:67:22
	v_readlane_b32 s17, v162, 49
	.loc	1 66 21                         ; layernorm_aot.py:66:21
	v_mul_f32_e32 v32, s88, v6
	.loc	1 67 22                         ; layernorm_aot.py:67:22
	s_nop 0
	v_lshl_add_u64 v[6:7], v[0:1], 2, s[16:17]
	.loc	1 67 28 is_stmt 0               ; layernorm_aot.py:67:28
	global_store_dword v[6:7], v32, off
.LBB0_353:                              ;   in Loop: Header=BB0_188 Depth=1
	.loc	1 0 28                          ; layernorm_aot.py:0:28
	s_or_b64 exec, exec, s[18:19]
	.loc	1 67 22                         ; layernorm_aot.py:67:22
	v_readlane_b32 s16, v162, 48
	v_readlane_b32 s17, v162, 49
	s_nop 1
	v_lshl_add_u64 v[6:7], v[4:5], 2, s[16:17]
	.loc	1 67 28                         ; layernorm_aot.py:67:28
	s_and_saveexec_b64 s[16:17], s[14:15]
	s_cbranch_execnz .LBB0_382
; %bb.354:                              ;   in Loop: Header=BB0_188 Depth=1
	.loc	1 0 28                          ; layernorm_aot.py:0:28
	s_or_b64 exec, exec, s[16:17]
	.loc	1 67 28                         ; layernorm_aot.py:67:28
	s_and_saveexec_b64 s[14:15], s[12:13]
	s_cbranch_execnz .LBB0_383
.LBB0_355:                              ;   in Loop: Header=BB0_188 Depth=1
	.loc	1 0 28                          ; layernorm_aot.py:0:28
	s_or_b64 exec, exec, s[14:15]
	.loc	1 67 28                         ; layernorm_aot.py:67:28
	s_and_saveexec_b64 s[12:13], s[10:11]
	s_cbranch_execnz .LBB0_384
.LBB0_356:                              ;   in Loop: Header=BB0_188 Depth=1
	.loc	1 0 28                          ; layernorm_aot.py:0:28
	s_or_b64 exec, exec, s[12:13]
	.loc	1 67 28                         ; layernorm_aot.py:67:28
	s_and_saveexec_b64 s[10:11], s[8:9]
	s_cbranch_execz .LBB0_358
.LBB0_357:                              ;   in Loop: Header=BB0_188 Depth=1
	.loc	1 63 31 is_stmt 1               ; layernorm_aot.py:63:31
	s_waitcnt vmcnt(0)
	v_subrev_f32_e32 v6, s97, v63
	.loc	1 63 37 is_stmt 0               ; layernorm_aot.py:63:37
	v_cndmask_b32_e64 v6, 0, v6, s[8:9]
	.loc	1 64 20 is_stmt 1               ; layernorm_aot.py:64:20
	v_mul_f32_e32 v6, s89, v6
	.loc	1 66 38                         ; layernorm_aot.py:66:38
	s_waitcnt lgkmcnt(0)
	v_fma_f32 v6, v23, v6, v19
	.loc	1 66 54 is_stmt 0               ; layernorm_aot.py:66:54
	v_div_scale_f32 v7, s[8:9], v24, v24, v6
	v_rcp_f32_e32 v28, v7
	v_div_scale_f32 v30, vcc, v6, v24, v6
	.loc	1 67 22 is_stmt 1               ; layernorm_aot.py:67:22
	v_readlane_b32 s8, v162, 52
	.loc	1 66 54                         ; layernorm_aot.py:66:54
	v_fma_f32 v31, -v7, v28, 1.0
	v_fmac_f32_e32 v28, v31, v28
	v_mul_f32_e32 v31, v30, v28
	v_fma_f32 v32, -v7, v31, v30
	v_fmac_f32_e32 v31, v32, v28
	v_fma_f32 v7, -v7, v31, v30
	v_div_fmas_f32 v7, v7, v28, v31
	v_div_fixup_f32 v6, v7, v24, v6
	.loc	1 66 30 is_stmt 0               ; layernorm_aot.py:66:30
	v_fma_f32 v6, v29, v67, -v6
	.loc	1 67 22 is_stmt 1               ; layernorm_aot.py:67:22
	v_readlane_b32 s9, v162, 53
	.loc	1 66 21                         ; layernorm_aot.py:66:21
	v_mul_f32_e32 v6, s89, v6
	.loc	1 67 22                         ; layernorm_aot.py:67:22
	s_nop 0
	v_lshl_add_u64 v[0:1], v[0:1], 2, s[8:9]
	.loc	1 67 28 is_stmt 0               ; layernorm_aot.py:67:28
	global_store_dword v[0:1], v6, off
.LBB0_358:                              ;   in Loop: Header=BB0_188 Depth=1
	.loc	1 0 28                          ; layernorm_aot.py:0:28
	s_or_b64 exec, exec, s[10:11]
	.loc	1 67 22                         ; layernorm_aot.py:67:22
	v_readlane_b32 s8, v162, 52
	v_readlane_b32 s9, v162, 53
	s_nop 1
	v_lshl_add_u64 v[0:1], v[4:5], 2, s[8:9]
	.loc	1 67 28                         ; layernorm_aot.py:67:28
	s_and_saveexec_b64 s[8:9], s[4:5]
	s_cbranch_execnz .LBB0_385
; %bb.359:                              ;   in Loop: Header=BB0_188 Depth=1
	.loc	1 0 28                          ; layernorm_aot.py:0:28
	s_or_b64 exec, exec, s[8:9]
	.loc	1 67 28                         ; layernorm_aot.py:67:28
	s_and_saveexec_b64 s[4:5], s[2:3]
	s_cbranch_execnz .LBB0_386
.LBB0_360:                              ;   in Loop: Header=BB0_188 Depth=1
	.loc	1 0 28                          ; layernorm_aot.py:0:28
	s_or_b64 exec, exec, s[4:5]
	.loc	1 67 28                         ; layernorm_aot.py:67:28
	s_and_saveexec_b64 s[2:3], s[0:1]
	s_cbranch_execz .LBB0_187
	s_branch .LBB0_387
.LBB0_361:                              ;   in Loop: Header=BB0_188 Depth=1
	.loc	1 62 24 is_stmt 1               ; layernorm_aot.py:62:24
	global_load_dword v64, v[6:7], off offset:2048
	s_or_b64 exec, exec, s[66:67]
	s_and_saveexec_b64 s[66:67], s[70:71]
	s_cbranch_execz .LBB0_322
.LBB0_362:                              ;   in Loop: Header=BB0_188 Depth=1
	global_load_dword v60, v[6:7], off offset:3072
	s_or_b64 exec, exec, s[66:67]
	.loc	1 67 28                         ; layernorm_aot.py:67:28
	s_and_saveexec_b64 s[66:67], s[92:93]
	s_cbranch_execz .LBB0_323
.LBB0_363:                              ;   in Loop: Header=BB0_188 Depth=1
	.loc	1 64 20                         ; layernorm_aot.py:64:20
	v_readlane_b32 s68, v162, 4
	v_readlane_b32 s69, v162, 5
	s_waitcnt vmcnt(0)
	v_subrev_f32_e32 v6, s68, v92
	v_mul_f32_e32 v6, s6, v6
	.loc	1 66 38                         ; layernorm_aot.py:66:38
	s_waitcnt lgkmcnt(7)
	v_fma_f32 v6, v8, v6, v12
	.loc	1 66 54 is_stmt 0               ; layernorm_aot.py:66:54
	v_div_scale_f32 v7, s[68:69], v24, v24, v6
	v_rcp_f32_e32 v92, v7
	v_div_scale_f32 v93, vcc, v6, v24, v6
	v_fma_f32 v94, -v7, v92, 1.0
	v_fmac_f32_e32 v92, v94, v92
	v_mul_f32_e32 v94, v93, v92
	v_fma_f32 v95, -v7, v94, v93
	v_fmac_f32_e32 v94, v95, v92
	v_fma_f32 v7, -v7, v94, v93
	v_div_fmas_f32 v7, v7, v92, v94
	v_div_fixup_f32 v6, v7, v24, v6
	.loc	1 66 30                         ; layernorm_aot.py:66:30
	v_fma_f32 v6, v56, v67, -v6
	.loc	1 66 21                         ; layernorm_aot.py:66:21
	v_mul_f32_e32 v56, s6, v6
	.loc	1 67 22 is_stmt 1               ; layernorm_aot.py:67:22
	v_lshl_add_u64 v[6:7], v[0:1], 2, s[74:75]
	.loc	1 67 28 is_stmt 0               ; layernorm_aot.py:67:28
	global_store_dword v[6:7], v56, off
	s_or_b64 exec, exec, s[66:67]
	.loc	1 67 22                         ; layernorm_aot.py:67:22
	v_lshl_add_u64 v[6:7], v[4:5], 2, s[74:75]
	.loc	1 67 28                         ; layernorm_aot.py:67:28
	s_and_saveexec_b64 s[66:67], s[64:65]
	s_cbranch_execz .LBB0_324
.LBB0_364:                              ;   in Loop: Header=BB0_188 Depth=1
	.loc	1 63 31 is_stmt 1               ; layernorm_aot.py:63:31
	v_readlane_b32 s68, v162, 4
	v_readlane_b32 s69, v162, 5
	s_waitcnt vmcnt(0)
	v_subrev_f32_e32 v56, s68, v90
	.loc	1 63 37 is_stmt 0               ; layernorm_aot.py:63:37
	v_cndmask_b32_e64 v56, 0, v56, s[64:65]
	.loc	1 64 20 is_stmt 1               ; layernorm_aot.py:64:20
	v_mul_f32_e32 v56, s6, v56
	.loc	1 66 38                         ; layernorm_aot.py:66:38
	s_waitcnt lgkmcnt(7)
	v_fma_f32 v56, v8, v56, v12
	.loc	1 66 54 is_stmt 0               ; layernorm_aot.py:66:54
	v_div_scale_f32 v90, s[64:65], v24, v24, v56
	v_rcp_f32_e32 v92, v90
	v_div_scale_f32 v93, vcc, v56, v24, v56
	v_fma_f32 v94, -v90, v92, 1.0
	v_fmac_f32_e32 v92, v94, v92
	v_mul_f32_e32 v94, v93, v92
	v_fma_f32 v95, -v90, v94, v93
	v_fmac_f32_e32 v94, v95, v92
	v_fma_f32 v90, -v90, v94, v93
	v_div_fmas_f32 v90, v90, v92, v94
	v_div_fixup_f32 v56, v90, v24, v56
	.loc	1 66 30                         ; layernorm_aot.py:66:30
	v_fma_f32 v54, v54, v61, -v56
	.loc	1 66 21                         ; layernorm_aot.py:66:21
	v_mul_f32_e32 v54, s6, v54
	.loc	1 67 28 is_stmt 1               ; layernorm_aot.py:67:28
	global_store_dword v[6:7], v54, off offset:1024
	s_or_b64 exec, exec, s[66:67]
	s_and_saveexec_b64 s[64:65], s[62:63]
	s_cbranch_execz .LBB0_325
.LBB0_365:                              ;   in Loop: Header=BB0_188 Depth=1
	.loc	1 63 31                         ; layernorm_aot.py:63:31
	v_readlane_b32 s66, v162, 4
	v_readlane_b32 s67, v162, 5
	s_waitcnt vmcnt(0)
	v_subrev_f32_e32 v54, s66, v91
	.loc	1 63 37 is_stmt 0               ; layernorm_aot.py:63:37
	v_cndmask_b32_e64 v54, 0, v54, s[62:63]
	.loc	1 64 20 is_stmt 1               ; layernorm_aot.py:64:20
	v_mul_f32_e32 v54, s6, v54
	.loc	1 66 38                         ; layernorm_aot.py:66:38
	s_waitcnt lgkmcnt(7)
	v_fma_f32 v54, v8, v54, v12
	.loc	1 66 54 is_stmt 0               ; layernorm_aot.py:66:54
	v_div_scale_f32 v56, s[62:63], v24, v24, v54
	v_rcp_f32_e32 v90, v56
	v_div_scale_f32 v91, vcc, v54, v24, v54
	v_fma_f32 v92, -v56, v90, 1.0
	v_fmac_f32_e32 v90, v92, v90
	v_mul_f32_e32 v92, v91, v90
	v_fma_f32 v93, -v56, v92, v91
	v_fmac_f32_e32 v92, v93, v90
	v_fma_f32 v56, -v56, v92, v91
	v_div_fmas_f32 v56, v56, v90, v92
	v_div_fixup_f32 v54, v56, v24, v54
	.loc	1 66 30                         ; layernorm_aot.py:66:30
	v_fma_f32 v54, v55, v64, -v54
	.loc	1 66 21                         ; layernorm_aot.py:66:21
	v_mul_f32_e32 v54, s6, v54
	.loc	1 67 28 is_stmt 1               ; layernorm_aot.py:67:28
	global_store_dword v[6:7], v54, off offset:2048
	s_or_b64 exec, exec, s[64:65]
	s_and_saveexec_b64 s[62:63], s[60:61]
	s_cbranch_execz .LBB0_326
.LBB0_366:                              ;   in Loop: Header=BB0_188 Depth=1
	.loc	1 63 31                         ; layernorm_aot.py:63:31
	v_readlane_b32 s64, v162, 4
	v_readlane_b32 s65, v162, 5
	s_waitcnt vmcnt(0)
	v_subrev_f32_e32 v54, s64, v89
	.loc	1 63 37 is_stmt 0               ; layernorm_aot.py:63:37
	v_cndmask_b32_e64 v54, 0, v54, s[60:61]
	.loc	1 64 20 is_stmt 1               ; layernorm_aot.py:64:20
	v_mul_f32_e32 v54, s6, v54
	.loc	1 66 38                         ; layernorm_aot.py:66:38
	s_waitcnt lgkmcnt(7)
	v_fma_f32 v54, v8, v54, v12
	.loc	1 66 54 is_stmt 0               ; layernorm_aot.py:66:54
	v_div_scale_f32 v55, s[60:61], v24, v24, v54
	v_rcp_f32_e32 v56, v55
	v_div_scale_f32 v89, vcc, v54, v24, v54
	v_fma_f32 v90, -v55, v56, 1.0
	v_fmac_f32_e32 v56, v90, v56
	v_mul_f32_e32 v90, v89, v56
	v_fma_f32 v91, -v55, v90, v89
	v_fmac_f32_e32 v90, v91, v56
	v_fma_f32 v55, -v55, v90, v89
	v_div_fmas_f32 v55, v55, v56, v90
	v_div_fixup_f32 v54, v55, v24, v54
	.loc	1 66 30                         ; layernorm_aot.py:66:30
	v_fma_f32 v52, v52, v60, -v54
	.loc	1 66 21                         ; layernorm_aot.py:66:21
	v_mul_f32_e32 v52, s6, v52
	.loc	1 67 28 is_stmt 1               ; layernorm_aot.py:67:28
	global_store_dword v[6:7], v52, off offset:3072
	s_or_b64 exec, exec, s[62:63]
	s_and_saveexec_b64 s[60:61], s[58:59]
	s_cbranch_execnz .LBB0_327
	s_branch .LBB0_328
.LBB0_367:                              ;   in Loop: Header=BB0_188 Depth=1
	.loc	1 63 31                         ; layernorm_aot.py:63:31
	v_readlane_b32 s60, v162, 4
	v_readlane_b32 s61, v162, 5
	s_waitcnt vmcnt(0)
	s_nop 0
	v_subrev_f32_e32 v52, s61, v86
	.loc	1 63 37 is_stmt 0               ; layernorm_aot.py:63:37
	v_cndmask_b32_e64 v52, 0, v52, s[56:57]
	.loc	1 64 20 is_stmt 1               ; layernorm_aot.py:64:20
	v_mul_f32_e32 v52, s7, v52
	.loc	1 66 38                         ; layernorm_aot.py:66:38
	s_waitcnt lgkmcnt(6)
	v_fma_f32 v52, v9, v52, v13
	.loc	1 66 54 is_stmt 0               ; layernorm_aot.py:66:54
	v_div_scale_f32 v53, s[56:57], v24, v24, v52
	v_rcp_f32_e32 v54, v53
	v_div_scale_f32 v55, vcc, v52, v24, v52
	v_fma_f32 v56, -v53, v54, 1.0
	v_fmac_f32_e32 v54, v56, v54
	v_mul_f32_e32 v56, v55, v54
	v_fma_f32 v86, -v53, v56, v55
	v_fmac_f32_e32 v56, v86, v54
	v_fma_f32 v53, -v53, v56, v55
	v_div_fmas_f32 v53, v53, v54, v56
	v_div_fixup_f32 v52, v53, v24, v52
	.loc	1 66 30                         ; layernorm_aot.py:66:30
	v_fma_f32 v50, v50, v61, -v52
	.loc	1 66 21                         ; layernorm_aot.py:66:21
	v_mul_f32_e32 v50, s7, v50
	.loc	1 67 28 is_stmt 1               ; layernorm_aot.py:67:28
	global_store_dword v[6:7], v50, off offset:1024
	s_or_b64 exec, exec, s[58:59]
	s_and_saveexec_b64 s[56:57], s[54:55]
	s_cbranch_execz .LBB0_330
.LBB0_368:                              ;   in Loop: Header=BB0_188 Depth=1
	.loc	1 63 31                         ; layernorm_aot.py:63:31
	v_readlane_b32 s58, v162, 4
	v_readlane_b32 s59, v162, 5
	s_waitcnt vmcnt(0)
	s_nop 0
	v_subrev_f32_e32 v50, s59, v87
	.loc	1 63 37 is_stmt 0               ; layernorm_aot.py:63:37
	v_cndmask_b32_e64 v50, 0, v50, s[54:55]
	.loc	1 64 20 is_stmt 1               ; layernorm_aot.py:64:20
	v_mul_f32_e32 v50, s7, v50
	.loc	1 66 38                         ; layernorm_aot.py:66:38
	s_waitcnt lgkmcnt(6)
	v_fma_f32 v50, v9, v50, v13
	.loc	1 66 54 is_stmt 0               ; layernorm_aot.py:66:54
	v_div_scale_f32 v52, s[54:55], v24, v24, v50
	v_rcp_f32_e32 v53, v52
	v_div_scale_f32 v54, vcc, v50, v24, v50
	v_fma_f32 v55, -v52, v53, 1.0
	v_fmac_f32_e32 v53, v55, v53
	v_mul_f32_e32 v55, v54, v53
	v_fma_f32 v56, -v52, v55, v54
	v_fmac_f32_e32 v55, v56, v53
	v_fma_f32 v52, -v52, v55, v54
	v_div_fmas_f32 v52, v52, v53, v55
	v_div_fixup_f32 v50, v52, v24, v50
	.loc	1 66 30                         ; layernorm_aot.py:66:30
	v_fma_f32 v50, v51, v64, -v50
	.loc	1 66 21                         ; layernorm_aot.py:66:21
	v_mul_f32_e32 v50, s7, v50
	.loc	1 67 28 is_stmt 1               ; layernorm_aot.py:67:28
	global_store_dword v[6:7], v50, off offset:2048
	s_or_b64 exec, exec, s[56:57]
	s_and_saveexec_b64 s[54:55], s[52:53]
	s_cbranch_execz .LBB0_331
.LBB0_369:                              ;   in Loop: Header=BB0_188 Depth=1
	.loc	1 63 31                         ; layernorm_aot.py:63:31
	v_readlane_b32 s56, v162, 4
	v_readlane_b32 s57, v162, 5
	s_waitcnt vmcnt(0)
	s_nop 0
	v_subrev_f32_e32 v50, s57, v84
	.loc	1 63 37 is_stmt 0               ; layernorm_aot.py:63:37
	v_cndmask_b32_e64 v50, 0, v50, s[52:53]
	.loc	1 64 20 is_stmt 1               ; layernorm_aot.py:64:20
	v_mul_f32_e32 v50, s7, v50
	.loc	1 66 38                         ; layernorm_aot.py:66:38
	s_waitcnt lgkmcnt(6)
	v_fma_f32 v50, v9, v50, v13
	.loc	1 66 54 is_stmt 0               ; layernorm_aot.py:66:54
	v_div_scale_f32 v51, s[52:53], v24, v24, v50
	v_rcp_f32_e32 v52, v51
	v_div_scale_f32 v53, vcc, v50, v24, v50
	v_fma_f32 v54, -v51, v52, 1.0
	v_fmac_f32_e32 v52, v54, v52
	v_mul_f32_e32 v54, v53, v52
	v_fma_f32 v55, -v51, v54, v53
	v_fmac_f32_e32 v54, v55, v52
	v_fma_f32 v51, -v51, v54, v53
	v_div_fmas_f32 v51, v51, v52, v54
	v_div_fixup_f32 v50, v51, v24, v50
	.loc	1 66 30                         ; layernorm_aot.py:66:30
	v_fma_f32 v48, v48, v60, -v50
	.loc	1 66 21                         ; layernorm_aot.py:66:21
	v_mul_f32_e32 v48, s7, v48
	.loc	1 67 28 is_stmt 1               ; layernorm_aot.py:67:28
	global_store_dword v[6:7], v48, off offset:3072
	s_or_b64 exec, exec, s[54:55]
	s_and_saveexec_b64 s[52:53], s[50:51]
	s_cbranch_execnz .LBB0_332
	s_branch .LBB0_333
.LBB0_370:                              ;   in Loop: Header=BB0_188 Depth=1
	.loc	1 63 31                         ; layernorm_aot.py:63:31
	s_waitcnt vmcnt(0)
	v_subrev_f32_e32 v48, s84, v82
	.loc	1 63 37 is_stmt 0               ; layernorm_aot.py:63:37
	v_cndmask_b32_e64 v48, 0, v48, s[48:49]
	.loc	1 64 20 is_stmt 1               ; layernorm_aot.py:64:20
	v_mul_f32_e32 v48, s82, v48
	.loc	1 66 38                         ; layernorm_aot.py:66:38
	s_waitcnt lgkmcnt(5)
	v_fma_f32 v48, v10, v48, v14
	.loc	1 66 54 is_stmt 0               ; layernorm_aot.py:66:54
	v_div_scale_f32 v49, s[48:49], v24, v24, v48
	v_rcp_f32_e32 v50, v49
	v_div_scale_f32 v51, vcc, v48, v24, v48
	v_fma_f32 v52, -v49, v50, 1.0
	v_fmac_f32_e32 v50, v52, v50
	v_mul_f32_e32 v52, v51, v50
	v_fma_f32 v53, -v49, v52, v51
	v_fmac_f32_e32 v52, v53, v50
	v_fma_f32 v49, -v49, v52, v51
	v_div_fmas_f32 v49, v49, v50, v52
	v_div_fixup_f32 v48, v49, v24, v48
	.loc	1 66 30                         ; layernorm_aot.py:66:30
	v_fma_f32 v46, v46, v61, -v48
	.loc	1 66 21                         ; layernorm_aot.py:66:21
	v_mul_f32_e32 v46, s82, v46
	.loc	1 67 28 is_stmt 1               ; layernorm_aot.py:67:28
	global_store_dword v[6:7], v46, off offset:1024
	s_or_b64 exec, exec, s[50:51]
	s_and_saveexec_b64 s[48:49], s[46:47]
	s_cbranch_execz .LBB0_335
.LBB0_371:                              ;   in Loop: Header=BB0_188 Depth=1
	.loc	1 63 31                         ; layernorm_aot.py:63:31
	s_waitcnt vmcnt(0)
	v_subrev_f32_e32 v46, s84, v83
	.loc	1 63 37 is_stmt 0               ; layernorm_aot.py:63:37
	v_cndmask_b32_e64 v46, 0, v46, s[46:47]
	.loc	1 64 20 is_stmt 1               ; layernorm_aot.py:64:20
	v_mul_f32_e32 v46, s82, v46
	.loc	1 66 38                         ; layernorm_aot.py:66:38
	s_waitcnt lgkmcnt(5)
	v_fma_f32 v46, v10, v46, v14
	.loc	1 66 54 is_stmt 0               ; layernorm_aot.py:66:54
	v_div_scale_f32 v48, s[46:47], v24, v24, v46
	v_rcp_f32_e32 v49, v48
	v_div_scale_f32 v50, vcc, v46, v24, v46
	v_fma_f32 v51, -v48, v49, 1.0
	v_fmac_f32_e32 v49, v51, v49
	v_mul_f32_e32 v51, v50, v49
	v_fma_f32 v52, -v48, v51, v50
	v_fmac_f32_e32 v51, v52, v49
	v_fma_f32 v48, -v48, v51, v50
	v_div_fmas_f32 v48, v48, v49, v51
	v_div_fixup_f32 v46, v48, v24, v46
	.loc	1 66 30                         ; layernorm_aot.py:66:30
	v_fma_f32 v46, v47, v64, -v46
	.loc	1 66 21                         ; layernorm_aot.py:66:21
	v_mul_f32_e32 v46, s82, v46
	.loc	1 67 28 is_stmt 1               ; layernorm_aot.py:67:28
	global_store_dword v[6:7], v46, off offset:2048
	s_or_b64 exec, exec, s[48:49]
	s_and_saveexec_b64 s[46:47], s[44:45]
	s_cbranch_execz .LBB0_336
.LBB0_372:                              ;   in Loop: Header=BB0_188 Depth=1
	.loc	1 63 31                         ; layernorm_aot.py:63:31
	s_waitcnt vmcnt(0)
	v_subrev_f32_e32 v46, s84, v80
	.loc	1 63 37 is_stmt 0               ; layernorm_aot.py:63:37
	v_cndmask_b32_e64 v46, 0, v46, s[44:45]
	.loc	1 64 20 is_stmt 1               ; layernorm_aot.py:64:20
	v_mul_f32_e32 v46, s82, v46
	.loc	1 66 38                         ; layernorm_aot.py:66:38
	s_waitcnt lgkmcnt(5)
	v_fma_f32 v46, v10, v46, v14
	.loc	1 66 54 is_stmt 0               ; layernorm_aot.py:66:54
	v_div_scale_f32 v47, s[44:45], v24, v24, v46
	v_rcp_f32_e32 v48, v47
	v_div_scale_f32 v49, vcc, v46, v24, v46
	v_fma_f32 v50, -v47, v48, 1.0
	v_fmac_f32_e32 v48, v50, v48
	v_mul_f32_e32 v50, v49, v48
	v_fma_f32 v51, -v47, v50, v49
	v_fmac_f32_e32 v50, v51, v48
	v_fma_f32 v47, -v47, v50, v49
	v_div_fmas_f32 v47, v47, v48, v50
	v_div_fixup_f32 v46, v47, v24, v46
	.loc	1 66 30                         ; layernorm_aot.py:66:30
	v_fma_f32 v44, v44, v60, -v46
	.loc	1 66 21                         ; layernorm_aot.py:66:21
	v_mul_f32_e32 v44, s82, v44
	.loc	1 67 28 is_stmt 1               ; layernorm_aot.py:67:28
	global_store_dword v[6:7], v44, off offset:3072
	s_or_b64 exec, exec, s[46:47]
	s_and_saveexec_b64 s[44:45], s[42:43]
	s_cbranch_execnz .LBB0_337
	s_branch .LBB0_338
.LBB0_373:                              ;   in Loop: Header=BB0_188 Depth=1
	.loc	1 63 31                         ; layernorm_aot.py:63:31
	s_waitcnt vmcnt(0)
	v_subrev_f32_e32 v44, s85, v78
	.loc	1 63 37 is_stmt 0               ; layernorm_aot.py:63:37
	v_cndmask_b32_e64 v44, 0, v44, s[40:41]
	.loc	1 64 20 is_stmt 1               ; layernorm_aot.py:64:20
	v_mul_f32_e32 v44, s83, v44
	.loc	1 66 38                         ; layernorm_aot.py:66:38
	s_waitcnt lgkmcnt(4)
	v_fma_f32 v44, v11, v44, v15
	.loc	1 66 54 is_stmt 0               ; layernorm_aot.py:66:54
	v_div_scale_f32 v45, s[40:41], v24, v24, v44
	v_rcp_f32_e32 v46, v45
	v_div_scale_f32 v47, vcc, v44, v24, v44
	v_fma_f32 v48, -v45, v46, 1.0
	v_fmac_f32_e32 v46, v48, v46
	v_mul_f32_e32 v48, v47, v46
	v_fma_f32 v49, -v45, v48, v47
	v_fmac_f32_e32 v48, v49, v46
	v_fma_f32 v45, -v45, v48, v47
	v_div_fmas_f32 v45, v45, v46, v48
	v_div_fixup_f32 v44, v45, v24, v44
	.loc	1 66 30                         ; layernorm_aot.py:66:30
	v_fma_f32 v42, v42, v61, -v44
	.loc	1 66 21                         ; layernorm_aot.py:66:21
	v_mul_f32_e32 v42, s83, v42
	.loc	1 67 28 is_stmt 1               ; layernorm_aot.py:67:28
	global_store_dword v[6:7], v42, off offset:1024
	s_or_b64 exec, exec, s[42:43]
	s_and_saveexec_b64 s[40:41], s[38:39]
	s_cbranch_execz .LBB0_340
.LBB0_374:                              ;   in Loop: Header=BB0_188 Depth=1
	.loc	1 63 31                         ; layernorm_aot.py:63:31
	s_waitcnt vmcnt(0)
	v_subrev_f32_e32 v42, s85, v79
	.loc	1 63 37 is_stmt 0               ; layernorm_aot.py:63:37
	v_cndmask_b32_e64 v42, 0, v42, s[38:39]
	.loc	1 64 20 is_stmt 1               ; layernorm_aot.py:64:20
	v_mul_f32_e32 v42, s83, v42
	.loc	1 66 38                         ; layernorm_aot.py:66:38
	s_waitcnt lgkmcnt(4)
	v_fma_f32 v42, v11, v42, v15
	.loc	1 66 54 is_stmt 0               ; layernorm_aot.py:66:54
	v_div_scale_f32 v44, s[38:39], v24, v24, v42
	v_rcp_f32_e32 v45, v44
	v_div_scale_f32 v46, vcc, v42, v24, v42
	v_fma_f32 v47, -v44, v45, 1.0
	v_fmac_f32_e32 v45, v47, v45
	v_mul_f32_e32 v47, v46, v45
	v_fma_f32 v48, -v44, v47, v46
	v_fmac_f32_e32 v47, v48, v45
	v_fma_f32 v44, -v44, v47, v46
	v_div_fmas_f32 v44, v44, v45, v47
	v_div_fixup_f32 v42, v44, v24, v42
	.loc	1 66 30                         ; layernorm_aot.py:66:30
	v_fma_f32 v42, v43, v64, -v42
	.loc	1 66 21                         ; layernorm_aot.py:66:21
	v_mul_f32_e32 v42, s83, v42
	.loc	1 67 28 is_stmt 1               ; layernorm_aot.py:67:28
	global_store_dword v[6:7], v42, off offset:2048
	s_or_b64 exec, exec, s[40:41]
	s_and_saveexec_b64 s[38:39], s[36:37]
	s_cbranch_execz .LBB0_341
.LBB0_375:                              ;   in Loop: Header=BB0_188 Depth=1
	.loc	1 63 31                         ; layernorm_aot.py:63:31
	s_waitcnt vmcnt(0)
	v_subrev_f32_e32 v42, s85, v76
	.loc	1 63 37 is_stmt 0               ; layernorm_aot.py:63:37
	v_cndmask_b32_e64 v42, 0, v42, s[36:37]
	.loc	1 64 20 is_stmt 1               ; layernorm_aot.py:64:20
	v_mul_f32_e32 v42, s83, v42
	.loc	1 66 38                         ; layernorm_aot.py:66:38
	s_waitcnt lgkmcnt(4)
	v_fma_f32 v42, v11, v42, v15
	.loc	1 66 54 is_stmt 0               ; layernorm_aot.py:66:54
	v_div_scale_f32 v43, s[36:37], v24, v24, v42
	v_rcp_f32_e32 v44, v43
	v_div_scale_f32 v45, vcc, v42, v24, v42
	v_fma_f32 v46, -v43, v44, 1.0
	v_fmac_f32_e32 v44, v46, v44
	v_mul_f32_e32 v46, v45, v44
	v_fma_f32 v47, -v43, v46, v45
	v_fmac_f32_e32 v46, v47, v44
	v_fma_f32 v43, -v43, v46, v45
	v_div_fmas_f32 v43, v43, v44, v46
	v_div_fixup_f32 v42, v43, v24, v42
	.loc	1 66 30                         ; layernorm_aot.py:66:30
	v_fma_f32 v40, v40, v60, -v42
	.loc	1 66 21                         ; layernorm_aot.py:66:21
	v_mul_f32_e32 v40, s83, v40
	.loc	1 67 28 is_stmt 1               ; layernorm_aot.py:67:28
	global_store_dword v[6:7], v40, off offset:3072
	s_or_b64 exec, exec, s[38:39]
	s_and_saveexec_b64 s[36:37], s[34:35]
	s_cbranch_execnz .LBB0_342
	s_branch .LBB0_343
.LBB0_376:                              ;   in Loop: Header=BB0_188 Depth=1
	.loc	1 63 31                         ; layernorm_aot.py:63:31
	s_waitcnt vmcnt(0)
	v_subrev_f32_e32 v40, s90, v74
	.loc	1 63 37 is_stmt 0               ; layernorm_aot.py:63:37
	v_cndmask_b32_e64 v40, 0, v40, s[30:31]
	.loc	1 64 20 is_stmt 1               ; layernorm_aot.py:64:20
	v_mul_f32_e32 v40, s86, v40
	.loc	1 66 38                         ; layernorm_aot.py:66:38
	s_waitcnt lgkmcnt(3)
	v_fma_f32 v40, v20, v40, v16
	.loc	1 66 54 is_stmt 0               ; layernorm_aot.py:66:54
	v_div_scale_f32 v41, s[30:31], v24, v24, v40
	v_rcp_f32_e32 v42, v41
	v_div_scale_f32 v43, vcc, v40, v24, v40
	v_fma_f32 v44, -v41, v42, 1.0
	v_fmac_f32_e32 v42, v44, v42
	v_mul_f32_e32 v44, v43, v42
	v_fma_f32 v45, -v41, v44, v43
	v_fmac_f32_e32 v44, v45, v42
	v_fma_f32 v41, -v41, v44, v43
	v_div_fmas_f32 v41, v41, v42, v44
	v_div_fixup_f32 v40, v41, v24, v40
	.loc	1 66 30                         ; layernorm_aot.py:66:30
	v_fma_f32 v38, v38, v61, -v40
	.loc	1 66 21                         ; layernorm_aot.py:66:21
	v_mul_f32_e32 v38, s86, v38
	.loc	1 67 28 is_stmt 1               ; layernorm_aot.py:67:28
	global_store_dword v[6:7], v38, off offset:1024
	s_or_b64 exec, exec, s[34:35]
	s_and_saveexec_b64 s[30:31], s[28:29]
	s_cbranch_execz .LBB0_345
.LBB0_377:                              ;   in Loop: Header=BB0_188 Depth=1
	.loc	1 63 31                         ; layernorm_aot.py:63:31
	s_waitcnt vmcnt(0)
	v_subrev_f32_e32 v38, s90, v75
	.loc	1 63 37 is_stmt 0               ; layernorm_aot.py:63:37
	v_cndmask_b32_e64 v38, 0, v38, s[28:29]
	.loc	1 64 20 is_stmt 1               ; layernorm_aot.py:64:20
	v_mul_f32_e32 v38, s86, v38
	.loc	1 66 38                         ; layernorm_aot.py:66:38
	s_waitcnt lgkmcnt(3)
	v_fma_f32 v38, v20, v38, v16
	.loc	1 66 54 is_stmt 0               ; layernorm_aot.py:66:54
	v_div_scale_f32 v40, s[28:29], v24, v24, v38
	v_rcp_f32_e32 v41, v40
	v_div_scale_f32 v42, vcc, v38, v24, v38
	v_fma_f32 v43, -v40, v41, 1.0
	v_fmac_f32_e32 v41, v43, v41
	v_mul_f32_e32 v43, v42, v41
	v_fma_f32 v44, -v40, v43, v42
	v_fmac_f32_e32 v43, v44, v41
	v_fma_f32 v40, -v40, v43, v42
	v_div_fmas_f32 v40, v40, v41, v43
	v_div_fixup_f32 v38, v40, v24, v38
	.loc	1 66 30                         ; layernorm_aot.py:66:30
	v_fma_f32 v38, v39, v64, -v38
	.loc	1 66 21                         ; layernorm_aot.py:66:21
	v_mul_f32_e32 v38, s86, v38
	.loc	1 67 28 is_stmt 1               ; layernorm_aot.py:67:28
	global_store_dword v[6:7], v38, off offset:2048
	s_or_b64 exec, exec, s[30:31]
	s_and_saveexec_b64 s[28:29], s[26:27]
	s_cbranch_execz .LBB0_346
.LBB0_378:                              ;   in Loop: Header=BB0_188 Depth=1
	.loc	1 63 31                         ; layernorm_aot.py:63:31
	s_waitcnt vmcnt(0)
	v_subrev_f32_e32 v38, s90, v72
	.loc	1 63 37 is_stmt 0               ; layernorm_aot.py:63:37
	v_cndmask_b32_e64 v38, 0, v38, s[26:27]
	.loc	1 64 20 is_stmt 1               ; layernorm_aot.py:64:20
	v_mul_f32_e32 v38, s86, v38
	.loc	1 66 38                         ; layernorm_aot.py:66:38
	s_waitcnt lgkmcnt(3)
	v_fma_f32 v38, v20, v38, v16
	.loc	1 66 54 is_stmt 0               ; layernorm_aot.py:66:54
	v_div_scale_f32 v39, s[26:27], v24, v24, v38
	v_rcp_f32_e32 v40, v39
	v_div_scale_f32 v41, vcc, v38, v24, v38
	v_fma_f32 v42, -v39, v40, 1.0
	v_fmac_f32_e32 v40, v42, v40
	v_mul_f32_e32 v42, v41, v40
	v_fma_f32 v43, -v39, v42, v41
	v_fmac_f32_e32 v42, v43, v40
	v_fma_f32 v39, -v39, v42, v41
	v_div_fmas_f32 v39, v39, v40, v42
	v_div_fixup_f32 v38, v39, v24, v38
	.loc	1 66 30                         ; layernorm_aot.py:66:30
	v_fma_f32 v36, v36, v60, -v38
	.loc	1 66 21                         ; layernorm_aot.py:66:21
	v_mul_f32_e32 v36, s86, v36
	.loc	1 67 28 is_stmt 1               ; layernorm_aot.py:67:28
	global_store_dword v[6:7], v36, off offset:3072
	s_or_b64 exec, exec, s[28:29]
	s_and_saveexec_b64 s[26:27], s[24:25]
	s_cbranch_execnz .LBB0_347
	s_branch .LBB0_348
.LBB0_379:                              ;   in Loop: Header=BB0_188 Depth=1
	.loc	1 63 31                         ; layernorm_aot.py:63:31
	s_waitcnt vmcnt(0)
	v_subrev_f32_e32 v36, s91, v70
	.loc	1 63 37 is_stmt 0               ; layernorm_aot.py:63:37
	v_cndmask_b32_e64 v36, 0, v36, s[22:23]
	.loc	1 64 20 is_stmt 1               ; layernorm_aot.py:64:20
	v_mul_f32_e32 v36, s87, v36
	.loc	1 66 38                         ; layernorm_aot.py:66:38
	s_waitcnt lgkmcnt(2)
	v_fma_f32 v36, v21, v36, v17
	.loc	1 66 54 is_stmt 0               ; layernorm_aot.py:66:54
	v_div_scale_f32 v37, s[22:23], v24, v24, v36
	v_rcp_f32_e32 v38, v37
	v_div_scale_f32 v39, vcc, v36, v24, v36
	v_fma_f32 v40, -v37, v38, 1.0
	v_fmac_f32_e32 v38, v40, v38
	v_mul_f32_e32 v40, v39, v38
	v_fma_f32 v41, -v37, v40, v39
	v_fmac_f32_e32 v40, v41, v38
	v_fma_f32 v37, -v37, v40, v39
	v_div_fmas_f32 v37, v37, v38, v40
	v_div_fixup_f32 v36, v37, v24, v36
	.loc	1 66 30                         ; layernorm_aot.py:66:30
	v_fma_f32 v34, v34, v61, -v36
	.loc	1 66 21                         ; layernorm_aot.py:66:21
	v_mul_f32_e32 v34, s87, v34
	.loc	1 67 28 is_stmt 1               ; layernorm_aot.py:67:28
	global_store_dword v[6:7], v34, off offset:1024
	s_or_b64 exec, exec, s[24:25]
	s_and_saveexec_b64 s[22:23], s[20:21]
	s_cbranch_execz .LBB0_350
.LBB0_380:                              ;   in Loop: Header=BB0_188 Depth=1
	.loc	1 63 31                         ; layernorm_aot.py:63:31
	s_waitcnt vmcnt(0)
	v_subrev_f32_e32 v34, s91, v71
	.loc	1 63 37 is_stmt 0               ; layernorm_aot.py:63:37
	v_cndmask_b32_e64 v34, 0, v34, s[20:21]
	.loc	1 64 20 is_stmt 1               ; layernorm_aot.py:64:20
	v_mul_f32_e32 v34, s87, v34
	.loc	1 66 38                         ; layernorm_aot.py:66:38
	s_waitcnt lgkmcnt(2)
	v_fma_f32 v34, v21, v34, v17
	.loc	1 66 54 is_stmt 0               ; layernorm_aot.py:66:54
	v_div_scale_f32 v36, s[20:21], v24, v24, v34
	v_rcp_f32_e32 v37, v36
	v_div_scale_f32 v38, vcc, v34, v24, v34
	v_fma_f32 v39, -v36, v37, 1.0
	v_fmac_f32_e32 v37, v39, v37
	v_mul_f32_e32 v39, v38, v37
	v_fma_f32 v40, -v36, v39, v38
	v_fmac_f32_e32 v39, v40, v37
	v_fma_f32 v36, -v36, v39, v38
	v_div_fmas_f32 v36, v36, v37, v39
	v_div_fixup_f32 v34, v36, v24, v34
	.loc	1 66 30                         ; layernorm_aot.py:66:30
	v_fma_f32 v34, v35, v64, -v34
	.loc	1 66 21                         ; layernorm_aot.py:66:21
	v_mul_f32_e32 v34, s87, v34
	.loc	1 67 28 is_stmt 1               ; layernorm_aot.py:67:28
	global_store_dword v[6:7], v34, off offset:2048
	s_or_b64 exec, exec, s[22:23]
	s_and_saveexec_b64 s[20:21], s[18:19]
	s_cbranch_execz .LBB0_351
.LBB0_381:                              ;   in Loop: Header=BB0_188 Depth=1
	.loc	1 63 31                         ; layernorm_aot.py:63:31
	s_waitcnt vmcnt(0)
	v_subrev_f32_e32 v34, s91, v68
	.loc	1 63 37 is_stmt 0               ; layernorm_aot.py:63:37
	v_cndmask_b32_e64 v34, 0, v34, s[18:19]
	.loc	1 64 20 is_stmt 1               ; layernorm_aot.py:64:20
	v_mul_f32_e32 v34, s87, v34
	.loc	1 66 38                         ; layernorm_aot.py:66:38
	s_waitcnt lgkmcnt(2)
	v_fma_f32 v34, v21, v34, v17
	.loc	1 66 54 is_stmt 0               ; layernorm_aot.py:66:54
	v_div_scale_f32 v35, s[18:19], v24, v24, v34
	v_rcp_f32_e32 v36, v35
	v_div_scale_f32 v37, vcc, v34, v24, v34
	v_fma_f32 v38, -v35, v36, 1.0
	v_fmac_f32_e32 v36, v38, v36
	v_mul_f32_e32 v38, v37, v36
	v_fma_f32 v39, -v35, v38, v37
	v_fmac_f32_e32 v38, v39, v36
	v_fma_f32 v35, -v35, v38, v37
	v_div_fmas_f32 v35, v35, v36, v38
	v_div_fixup_f32 v34, v35, v24, v34
	.loc	1 66 30                         ; layernorm_aot.py:66:30
	v_fma_f32 v32, v32, v60, -v34
	.loc	1 66 21                         ; layernorm_aot.py:66:21
	v_mul_f32_e32 v32, s87, v32
	.loc	1 67 28 is_stmt 1               ; layernorm_aot.py:67:28
	global_store_dword v[6:7], v32, off offset:3072
	s_or_b64 exec, exec, s[20:21]
	s_and_saveexec_b64 s[18:19], s[16:17]
	s_cbranch_execnz .LBB0_352
	s_branch .LBB0_353
.LBB0_382:                              ;   in Loop: Header=BB0_188 Depth=1
	.loc	1 63 31                         ; layernorm_aot.py:63:31
	s_waitcnt vmcnt(0)
	v_subrev_f32_e32 v32, s96, v65
	.loc	1 63 37 is_stmt 0               ; layernorm_aot.py:63:37
	v_cndmask_b32_e64 v32, 0, v32, s[14:15]
	.loc	1 64 20 is_stmt 1               ; layernorm_aot.py:64:20
	v_mul_f32_e32 v32, s88, v32
	.loc	1 66 38                         ; layernorm_aot.py:66:38
	s_waitcnt lgkmcnt(1)
	v_fma_f32 v32, v22, v32, v18
	.loc	1 66 54 is_stmt 0               ; layernorm_aot.py:66:54
	v_div_scale_f32 v33, s[14:15], v24, v24, v32
	v_rcp_f32_e32 v34, v33
	v_div_scale_f32 v35, vcc, v32, v24, v32
	v_fma_f32 v36, -v33, v34, 1.0
	v_fmac_f32_e32 v34, v36, v34
	v_mul_f32_e32 v36, v35, v34
	v_fma_f32 v37, -v33, v36, v35
	v_fmac_f32_e32 v36, v37, v34
	v_fma_f32 v33, -v33, v36, v35
	v_div_fmas_f32 v33, v33, v34, v36
	v_div_fixup_f32 v32, v33, v24, v32
	.loc	1 66 30                         ; layernorm_aot.py:66:30
	v_fma_f32 v30, v30, v61, -v32
	.loc	1 66 21                         ; layernorm_aot.py:66:21
	v_mul_f32_e32 v30, s88, v30
	.loc	1 67 28 is_stmt 1               ; layernorm_aot.py:67:28
	global_store_dword v[6:7], v30, off offset:1024
	s_or_b64 exec, exec, s[16:17]
	s_and_saveexec_b64 s[14:15], s[12:13]
	s_cbranch_execz .LBB0_355
.LBB0_383:                              ;   in Loop: Header=BB0_188 Depth=1
	.loc	1 63 31                         ; layernorm_aot.py:63:31
	s_waitcnt vmcnt(0)
	v_subrev_f32_e32 v30, s96, v66
	.loc	1 63 37 is_stmt 0               ; layernorm_aot.py:63:37
	v_cndmask_b32_e64 v30, 0, v30, s[12:13]
	.loc	1 64 20 is_stmt 1               ; layernorm_aot.py:64:20
	v_mul_f32_e32 v30, s88, v30
	.loc	1 66 38                         ; layernorm_aot.py:66:38
	s_waitcnt lgkmcnt(1)
	v_fma_f32 v30, v22, v30, v18
	.loc	1 66 54 is_stmt 0               ; layernorm_aot.py:66:54
	v_div_scale_f32 v32, s[12:13], v24, v24, v30
	v_rcp_f32_e32 v33, v32
	v_div_scale_f32 v34, vcc, v30, v24, v30
	v_fma_f32 v35, -v32, v33, 1.0
	v_fmac_f32_e32 v33, v35, v33
	v_mul_f32_e32 v35, v34, v33
	v_fma_f32 v36, -v32, v35, v34
	v_fmac_f32_e32 v35, v36, v33
	v_fma_f32 v32, -v32, v35, v34
	v_div_fmas_f32 v32, v32, v33, v35
	v_div_fixup_f32 v30, v32, v24, v30
	.loc	1 66 30                         ; layernorm_aot.py:66:30
	v_fma_f32 v30, v31, v64, -v30
	.loc	1 66 21                         ; layernorm_aot.py:66:21
	v_mul_f32_e32 v30, s88, v30
	.loc	1 67 28 is_stmt 1               ; layernorm_aot.py:67:28
	global_store_dword v[6:7], v30, off offset:2048
	s_or_b64 exec, exec, s[14:15]
	s_and_saveexec_b64 s[12:13], s[10:11]
	s_cbranch_execz .LBB0_356
.LBB0_384:                              ;   in Loop: Header=BB0_188 Depth=1
	.loc	1 63 31                         ; layernorm_aot.py:63:31
	s_waitcnt vmcnt(0)
	v_subrev_f32_e32 v30, s96, v62
	.loc	1 63 37 is_stmt 0               ; layernorm_aot.py:63:37
	v_cndmask_b32_e64 v30, 0, v30, s[10:11]
	.loc	1 64 20 is_stmt 1               ; layernorm_aot.py:64:20
	v_mul_f32_e32 v30, s88, v30
	.loc	1 66 38                         ; layernorm_aot.py:66:38
	s_waitcnt lgkmcnt(1)
	v_fma_f32 v30, v22, v30, v18
	.loc	1 66 54 is_stmt 0               ; layernorm_aot.py:66:54
	v_div_scale_f32 v31, s[10:11], v24, v24, v30
	v_rcp_f32_e32 v32, v31
	v_div_scale_f32 v33, vcc, v30, v24, v30
	v_fma_f32 v34, -v31, v32, 1.0
	v_fmac_f32_e32 v32, v34, v32
	v_mul_f32_e32 v34, v33, v32
	v_fma_f32 v35, -v31, v34, v33
	v_fmac_f32_e32 v34, v35, v32
	v_fma_f32 v31, -v31, v34, v33
	v_div_fmas_f32 v31, v31, v32, v34
	v_div_fixup_f32 v30, v31, v24, v30
	.loc	1 66 30                         ; layernorm_aot.py:66:30
	v_fma_f32 v28, v28, v60, -v30
	.loc	1 66 21                         ; layernorm_aot.py:66:21
	v_mul_f32_e32 v28, s88, v28
	.loc	1 67 28 is_stmt 1               ; layernorm_aot.py:67:28
	global_store_dword v[6:7], v28, off offset:3072
	s_or_b64 exec, exec, s[12:13]
	s_and_saveexec_b64 s[10:11], s[8:9]
	s_cbranch_execnz .LBB0_357
	s_branch .LBB0_358
.LBB0_385:                              ;   in Loop: Header=BB0_188 Depth=1
	.loc	1 63 31                         ; layernorm_aot.py:63:31
	s_waitcnt vmcnt(0)
	v_subrev_f32_e32 v4, s97, v58
	.loc	1 63 37 is_stmt 0               ; layernorm_aot.py:63:37
	v_cndmask_b32_e64 v4, 0, v4, s[4:5]
	.loc	1 64 20 is_stmt 1               ; layernorm_aot.py:64:20
	v_mul_f32_e32 v4, s89, v4
	.loc	1 66 38                         ; layernorm_aot.py:66:38
	s_waitcnt lgkmcnt(0)
	v_fma_f32 v4, v23, v4, v19
	.loc	1 66 54 is_stmt 0               ; layernorm_aot.py:66:54
	v_div_scale_f32 v5, s[4:5], v24, v24, v4
	v_rcp_f32_e32 v6, v5
	v_div_scale_f32 v7, vcc, v4, v24, v4
	v_fma_f32 v28, -v5, v6, 1.0
	v_fmac_f32_e32 v6, v28, v6
	v_mul_f32_e32 v28, v7, v6
	v_fma_f32 v29, -v5, v28, v7
	v_fmac_f32_e32 v28, v29, v6
	v_fma_f32 v5, -v5, v28, v7
	v_div_fmas_f32 v5, v5, v6, v28
	v_div_fixup_f32 v4, v5, v24, v4
	.loc	1 66 30                         ; layernorm_aot.py:66:30
	v_fma_f32 v4, v26, v61, -v4
	.loc	1 66 21                         ; layernorm_aot.py:66:21
	v_mul_f32_e32 v4, s89, v4
	.loc	1 67 28 is_stmt 1               ; layernorm_aot.py:67:28
	global_store_dword v[0:1], v4, off offset:1024
	s_or_b64 exec, exec, s[8:9]
	s_and_saveexec_b64 s[4:5], s[2:3]
	s_cbranch_execz .LBB0_360
.LBB0_386:                              ;   in Loop: Header=BB0_188 Depth=1
	.loc	1 63 31                         ; layernorm_aot.py:63:31
	s_waitcnt vmcnt(0)
	v_subrev_f32_e32 v4, s97, v59
	.loc	1 63 37 is_stmt 0               ; layernorm_aot.py:63:37
	v_cndmask_b32_e64 v4, 0, v4, s[2:3]
	.loc	1 64 20 is_stmt 1               ; layernorm_aot.py:64:20
	v_mul_f32_e32 v4, s89, v4
	.loc	1 66 38                         ; layernorm_aot.py:66:38
	s_waitcnt lgkmcnt(0)
	v_fma_f32 v4, v23, v4, v19
	.loc	1 66 54 is_stmt 0               ; layernorm_aot.py:66:54
	v_div_scale_f32 v5, s[2:3], v24, v24, v4
	v_rcp_f32_e32 v6, v5
	v_div_scale_f32 v7, vcc, v4, v24, v4
	v_fma_f32 v26, -v5, v6, 1.0
	v_fmac_f32_e32 v6, v26, v6
	v_mul_f32_e32 v26, v7, v6
	v_fma_f32 v28, -v5, v26, v7
	v_fmac_f32_e32 v26, v28, v6
	v_fma_f32 v5, -v5, v26, v7
	v_div_fmas_f32 v5, v5, v6, v26
	v_div_fixup_f32 v4, v5, v24, v4
	.loc	1 66 30                         ; layernorm_aot.py:66:30
	v_fma_f32 v4, v27, v64, -v4
	.loc	1 66 21                         ; layernorm_aot.py:66:21
	v_mul_f32_e32 v4, s89, v4
	.loc	1 67 28 is_stmt 1               ; layernorm_aot.py:67:28
	global_store_dword v[0:1], v4, off offset:2048
	s_or_b64 exec, exec, s[4:5]
	s_and_saveexec_b64 s[2:3], s[0:1]
	s_cbranch_execz .LBB0_187
.LBB0_387:                              ;   in Loop: Header=BB0_188 Depth=1
	.loc	1 63 31                         ; layernorm_aot.py:63:31
	s_waitcnt vmcnt(0)
	v_subrev_f32_e32 v4, s97, v57
	.loc	1 63 37 is_stmt 0               ; layernorm_aot.py:63:37
	v_cndmask_b32_e64 v4, 0, v4, s[0:1]
	.loc	1 64 20 is_stmt 1               ; layernorm_aot.py:64:20
	v_mul_f32_e32 v4, s89, v4
	.loc	1 66 38                         ; layernorm_aot.py:66:38
	s_waitcnt lgkmcnt(0)
	v_fma_f32 v4, v23, v4, v19
	.loc	1 66 54 is_stmt 0               ; layernorm_aot.py:66:54
	v_div_scale_f32 v5, s[0:1], v24, v24, v4
	v_rcp_f32_e32 v6, v5
	v_div_scale_f32 v7, vcc, v4, v24, v4
	v_fma_f32 v26, -v5, v6, 1.0
	v_fmac_f32_e32 v6, v26, v6
	v_mul_f32_e32 v26, v7, v6
	v_fma_f32 v27, -v5, v26, v7
	v_fmac_f32_e32 v26, v27, v6
	v_fma_f32 v5, -v5, v26, v7
	v_div_fmas_f32 v5, v5, v6, v26
	v_div_fixup_f32 v4, v5, v24, v4
	.loc	1 66 30                         ; layernorm_aot.py:66:30
	v_fma_f32 v4, v25, v60, -v4
	.loc	1 66 21                         ; layernorm_aot.py:66:21
	v_mul_f32_e32 v4, s89, v4
	.loc	1 67 28 is_stmt 1               ; layernorm_aot.py:67:28
	global_store_dword v[0:1], v4, off offset:3072
	s_branch .LBB0_187
.LBB0_388:                              ; %._crit_edge33
	.loc	1 53 4                          ; layernorm_aot.py:53:4
	s_endpgm
.LBB0_389:
	.loc	1 29 19                         ; layernorm_aot.py:29:19
	s_load_dword s87, s[8:9], 0x14
	s_mov_b32 s89, 0
	s_andn2_b64 vcc, exec, s[98:99]
	s_mov_b32 s88, 0
	s_cbranch_vccnz .LBB0_28
.LBB0_390:
	s_load_dword s88, s[8:9], 0x18
	s_andn2_b64 vcc, exec, s[78:79]
	s_cbranch_vccz .LBB0_29
	s_branch .LBB0_30
.LBB0_391:
.Ltmp103:
	.loc	2 293 36                        ; standard.py:293:36 @[ layernorm_aot.py:50:18 ]
	v_mov_b32_e32 v1, s8
	v_mov_b32_e32 v3, s2
	;; [unrolled: 1-line block ×3, first 2 shown]
	ds_write2_b32 v1, v3, v12 offset1:4
	s_or_b64 exec, exec, s[0:1]
	s_and_saveexec_b64 s[0:1], vcc
	s_cbranch_execz .LBB0_172
.LBB0_392:
	v_mov_b32_e32 v1, s8
	v_mov_b32_e32 v3, s3
	;; [unrolled: 1-line block ×3, first 2 shown]
	ds_write2_b32 v1, v3, v12 offset0:8 offset1:12
	s_or_b64 exec, exec, s[0:1]
	s_and_saveexec_b64 s[0:1], vcc
	s_cbranch_execz .LBB0_173
.LBB0_393:
	v_mov_b32_e32 v1, s8
	v_mov_b32_e32 v3, s5
	;; [unrolled: 1-line block ×3, first 2 shown]
	ds_write2_b32 v1, v3, v12 offset0:16 offset1:20
	s_or_b64 exec, exec, s[0:1]
	s_and_saveexec_b64 s[0:1], vcc
	s_cbranch_execnz .LBB0_174
	s_branch .LBB0_175
.Ltmp104:
	.section	.rodata,"a",@progbits
	.p2align	6, 0x0
	.amdhsa_kernel layer_norm_backward_kernel
		.amdhsa_group_segment_fixed_size 0
		.amdhsa_private_segment_fixed_size 0
		.amdhsa_kernarg_size 72
		.amdhsa_user_sgpr_count 16
		.amdhsa_user_sgpr_dispatch_ptr 0
		.amdhsa_user_sgpr_queue_ptr 0
		.amdhsa_user_sgpr_kernarg_segment_ptr 1
		.amdhsa_user_sgpr_dispatch_id 0
		.amdhsa_user_sgpr_kernarg_preload_length 14
		.amdhsa_user_sgpr_kernarg_preload_offset 0
		.amdhsa_user_sgpr_private_segment_size 0
		.amdhsa_uses_dynamic_stack 0
		.amdhsa_enable_private_segment 0
		.amdhsa_system_sgpr_workgroup_id_x 1
		.amdhsa_system_sgpr_workgroup_id_y 0
		.amdhsa_system_sgpr_workgroup_id_z 0
		.amdhsa_system_sgpr_workgroup_info 0
		.amdhsa_system_vgpr_workitem_id 0
		.amdhsa_next_free_vgpr 163
		.amdhsa_next_free_sgpr 100
		.amdhsa_accum_offset 164
		.amdhsa_reserve_vcc 1
		.amdhsa_reserve_xnack_mask 1
		.amdhsa_float_round_mode_32 0
		.amdhsa_float_round_mode_16_64 0
		.amdhsa_float_denorm_mode_32 3
		.amdhsa_float_denorm_mode_16_64 3
		.amdhsa_dx10_clamp 1
		.amdhsa_ieee_mode 1
		.amdhsa_fp16_overflow 0
		.amdhsa_tg_split 0
		.amdhsa_exception_fp_ieee_invalid_op 0
		.amdhsa_exception_fp_denorm_src 0
		.amdhsa_exception_fp_ieee_div_zero 0
		.amdhsa_exception_fp_ieee_overflow 0
		.amdhsa_exception_fp_ieee_underflow 0
		.amdhsa_exception_fp_ieee_inexact 0
		.amdhsa_exception_int_div_zero 0
	.end_amdhsa_kernel
	.text
.Lfunc_end0:
	.size	layer_norm_backward_kernel, .Lfunc_end0-layer_norm_backward_kernel
	.cfi_endproc
                                        ; -- End function
	.set layer_norm_backward_kernel.num_vgpr, 163
	.set layer_norm_backward_kernel.num_agpr, 0
	.set layer_norm_backward_kernel.numbered_sgpr, 100
	.set layer_norm_backward_kernel.num_named_barrier, 0
	.set layer_norm_backward_kernel.private_seg_size, 0
	.set layer_norm_backward_kernel.uses_vcc, 1
	.set layer_norm_backward_kernel.uses_flat_scratch, 0
	.set layer_norm_backward_kernel.has_dyn_sized_stack, 0
	.set layer_norm_backward_kernel.has_recursion, 0
	.set layer_norm_backward_kernel.has_indirect_call, 0
	.section	.AMDGPU.csdata,"",@progbits
; Kernel info:
; codeLenInByte = 17256
; TotalNumSgprs: 106
; NumVgprs: 163
; NumAgprs: 0
; TotalNumVgprs: 163
; ScratchSize: 0
; MemoryBound: 0
; FloatMode: 240
; IeeeMode: 1
; LDSByteSize: 0 bytes/workgroup (compile time only)
; SGPRBlocks: 13
; VGPRBlocks: 20
; NumSGPRsForWavesPerEU: 106
; NumVGPRsForWavesPerEU: 163
; AccumOffset: 164
; Occupancy: 3
; WaveLimiterHint : 0
; COMPUTE_PGM_RSRC2:SCRATCH_EN: 0
; COMPUTE_PGM_RSRC2:USER_SGPR: 16
; COMPUTE_PGM_RSRC2:TRAP_HANDLER: 0
; COMPUTE_PGM_RSRC2:TGID_X_EN: 1
; COMPUTE_PGM_RSRC2:TGID_Y_EN: 0
; COMPUTE_PGM_RSRC2:TGID_Z_EN: 0
; COMPUTE_PGM_RSRC2:TIDIG_COMP_CNT: 0
; COMPUTE_PGM_RSRC3_GFX90A:ACCUM_OFFSET: 40
; COMPUTE_PGM_RSRC3_GFX90A:TG_SPLIT: 0
	.text
	.p2alignl 6, 3212836864
	.fill 256, 4, 3212836864
	.section	.AMDGPU.gpr_maximums,"",@progbits
	.set amdgpu.max_num_vgpr, 0
	.set amdgpu.max_num_agpr, 0
	.set amdgpu.max_num_sgpr, 0
	.set amdgpu.max_num_named_barrier, 0
	.text
	.section	.debug_abbrev,"",@progbits
	.byte	1                               ; Abbreviation Code
	.byte	17                              ; DW_TAG_compile_unit
	.byte	1                               ; DW_CHILDREN_yes
	.byte	37                              ; DW_AT_producer
	.byte	14                              ; DW_FORM_strp
	.byte	19                              ; DW_AT_language
	.byte	5                               ; DW_FORM_data2
	.byte	3                               ; DW_AT_name
	.byte	14                              ; DW_FORM_strp
	.byte	16                              ; DW_AT_stmt_list
	.byte	23                              ; DW_FORM_sec_offset
	.byte	27                              ; DW_AT_comp_dir
	.byte	14                              ; DW_FORM_strp
	.byte	17                              ; DW_AT_low_pc
	.byte	1                               ; DW_FORM_addr
	.byte	18                              ; DW_AT_high_pc
	.byte	6                               ; DW_FORM_data4
	.byte	0                               ; EOM(1)
	.byte	0                               ; EOM(2)
	.byte	2                               ; Abbreviation Code
	.byte	46                              ; DW_TAG_subprogram
	.byte	0                               ; DW_CHILDREN_no
	.byte	3                               ; DW_AT_name
	.byte	14                              ; DW_FORM_strp
	.byte	32                              ; DW_AT_inline
	.byte	11                              ; DW_FORM_data1
	.byte	0                               ; EOM(1)
	.byte	0                               ; EOM(2)
	.byte	3                               ; Abbreviation Code
	.byte	46                              ; DW_TAG_subprogram
	.byte	1                               ; DW_CHILDREN_yes
	.byte	17                              ; DW_AT_low_pc
	.byte	1                               ; DW_FORM_addr
	.byte	18                              ; DW_AT_high_pc
	.byte	6                               ; DW_FORM_data4
	.byte	49                              ; DW_AT_abstract_origin
	.byte	19                              ; DW_FORM_ref4
	.byte	0                               ; EOM(1)
	.byte	0                               ; EOM(2)
	.byte	4                               ; Abbreviation Code
	.byte	29                              ; DW_TAG_inlined_subroutine
	.byte	1                               ; DW_CHILDREN_yes
	.byte	49                              ; DW_AT_abstract_origin
	.byte	19                              ; DW_FORM_ref4
	.byte	85                              ; DW_AT_ranges
	.byte	23                              ; DW_FORM_sec_offset
	.byte	88                              ; DW_AT_call_file
	.byte	11                              ; DW_FORM_data1
	.byte	89                              ; DW_AT_call_line
	.byte	11                              ; DW_FORM_data1
	.byte	87                              ; DW_AT_call_column
	.byte	11                              ; DW_FORM_data1
	.byte	0                               ; EOM(1)
	.byte	0                               ; EOM(2)
	.byte	5                               ; Abbreviation Code
	.byte	29                              ; DW_TAG_inlined_subroutine
	.byte	0                               ; DW_CHILDREN_no
	.byte	49                              ; DW_AT_abstract_origin
	.byte	19                              ; DW_FORM_ref4
	.byte	85                              ; DW_AT_ranges
	.byte	23                              ; DW_FORM_sec_offset
	.byte	88                              ; DW_AT_call_file
	.byte	11                              ; DW_FORM_data1
	.byte	89                              ; DW_AT_call_line
	.byte	5                               ; DW_FORM_data2
	.byte	87                              ; DW_AT_call_column
	.byte	11                              ; DW_FORM_data1
	.byte	0                               ; EOM(1)
	.byte	0                               ; EOM(2)
	;; [unrolled: 1-line block ×3, first 2 shown]
	.section	.debug_info,"",@progbits
.Lcu_begin0:
	.long	.Ldebug_info_end0-.Ldebug_info_start0 ; Length of Unit
.Ldebug_info_start0:
	.short	4                               ; DWARF version number
	.long	.debug_abbrev                   ; Offset Into Abbrev. Section
	.byte	8                               ; Address Size (in bytes)
	.byte	1                               ; Abbrev [1] 0xb:0x6c DW_TAG_compile_unit
	.long	.Linfo_string0                  ; DW_AT_producer
	.short	2                               ; DW_AT_language
	.long	.Linfo_string1                  ; DW_AT_name
	.long	.Lline_table_start0             ; DW_AT_stmt_list
	.long	.Linfo_string2                  ; DW_AT_comp_dir
	.quad	.Lfunc_begin0                   ; DW_AT_low_pc
	.long	.Lfunc_end0-.Lfunc_begin0       ; DW_AT_high_pc
	.byte	2                               ; Abbrev [2] 0x2a:0x6 DW_TAG_subprogram
	.long	.Linfo_string3                  ; DW_AT_name
	.byte	1                               ; DW_AT_inline
	.byte	3                               ; Abbrev [3] 0x30:0x46 DW_TAG_subprogram
	.quad	.Lfunc_begin0                   ; DW_AT_low_pc
	.long	.Lfunc_end0-.Lfunc_begin0       ; DW_AT_high_pc
	.long	42                              ; DW_AT_abstract_origin
	.byte	4                               ; Abbrev [4] 0x41:0x1a DW_TAG_inlined_subroutine
	.long	42                              ; DW_AT_abstract_origin
	.long	.Ldebug_ranges0                 ; DW_AT_ranges
	.byte	1                               ; DW_AT_call_file
	.byte	51                              ; DW_AT_call_line
	.byte	18                              ; DW_AT_call_column
	.byte	5                               ; Abbrev [5] 0x4d:0xd DW_TAG_inlined_subroutine
	.long	42                              ; DW_AT_abstract_origin
	.long	.Ldebug_ranges1                 ; DW_AT_ranges
	.byte	2                               ; DW_AT_call_file
	.short	293                             ; DW_AT_call_line
	.byte	36                              ; DW_AT_call_column
	.byte	0                               ; End Of Children Mark
	.byte	4                               ; Abbrev [4] 0x5b:0x1a DW_TAG_inlined_subroutine
	.long	42                              ; DW_AT_abstract_origin
	.long	.Ldebug_ranges2                 ; DW_AT_ranges
	.byte	1                               ; DW_AT_call_file
	.byte	50                              ; DW_AT_call_line
	.byte	18                              ; DW_AT_call_column
	.byte	5                               ; Abbrev [5] 0x67:0xd DW_TAG_inlined_subroutine
	.long	42                              ; DW_AT_abstract_origin
	.long	.Ldebug_ranges3                 ; DW_AT_ranges
	.byte	2                               ; DW_AT_call_file
	.short	293                             ; DW_AT_call_line
	.byte	36                              ; DW_AT_call_column
	.byte	0                               ; End Of Children Mark
	.byte	0                               ; End Of Children Mark
	;; [unrolled: 1-line block ×3, first 2 shown]
.Ldebug_info_end0:
	.section	.debug_ranges,"",@progbits
.Ldebug_ranges0:
	.quad	.Ltmp2-.Lfunc_begin0
	.quad	.Ltmp3-.Lfunc_begin0
	;; [unrolled: 1-line block ×26, first 2 shown]
	.quad	0
	.quad	0
.Ldebug_ranges1:
	.quad	.Ltmp5-.Lfunc_begin0
	.quad	.Ltmp6-.Lfunc_begin0
	;; [unrolled: 1-line block ×50, first 2 shown]
	.quad	0
	.quad	0
.Ldebug_ranges2:
	.quad	.Ltmp4-.Lfunc_begin0
	.quad	.Ltmp5-.Lfunc_begin0
	;; [unrolled: 1-line block ×20, first 2 shown]
	.quad	0
	.quad	0
.Ldebug_ranges3:
	.quad	.Ltmp4-.Lfunc_begin0
	.quad	.Ltmp5-.Lfunc_begin0
	;; [unrolled: 1-line block ×52, first 2 shown]
	.quad	0
	.quad	0
	.section	.debug_str,"MS",@progbits,1
.Linfo_string0:
	.asciz	"triton"                        ; string offset=0
.Linfo_string1:
	.asciz	"layernorm_aot.py"              ; string offset=7
.Linfo_string2:
	.asciz	"/root/src/amdgpu-assembly/repos/FlagOpen__FlagGems/triton_aot_kernels" ; string offset=24
.Linfo_string3:
	.asciz	"layer_norm_backward_kernel"    ; string offset=94
	.section	".note.GNU-stack","",@progbits
	.amdgpu_metadata
---
amdhsa.kernels:
  - .agpr_count:     0
    .args:
      - .address_space:  global
        .offset:         0
        .size:           8
        .value_kind:     global_buffer
      - .address_space:  global
        .offset:         8
        .size:           8
        .value_kind:     global_buffer
      - .address_space:  global
        .offset:         16
        .size:           8
        .value_kind:     global_buffer
      - .address_space:  global
        .offset:         24
        .size:           8
        .value_kind:     global_buffer
      - .address_space:  global
        .offset:         32
        .size:           8
        .value_kind:     global_buffer
      - .address_space:  global
        .offset:         40
        .size:           8
        .value_kind:     global_buffer
      - .offset:         48
        .size:           4
        .value_kind:     by_value
      - .offset:         52
        .size:           4
        .value_kind:     by_value
      - .address_space:  global
        .offset:         56
        .size:           8
        .value_kind:     global_buffer
      - .address_space:  global
        .offset:         64
        .size:           8
        .value_kind:     global_buffer
    .group_segment_fixed_size: 0
    .kernarg_segment_align: 8
    .kernarg_segment_size: 72
    .max_flat_workgroup_size: 256
    .name:           layer_norm_backward_kernel
    .private_segment_fixed_size: 0
    .sgpr_count:     106
    .sgpr_spill_count: 84
    .symbol:         layer_norm_backward_kernel.kd
    .uniform_work_group_size: 1
    .uses_dynamic_stack: false
    .vgpr_count:     163
    .vgpr_spill_count: 0
    .wavefront_size: 64
amdhsa.target:   amdgcn-amd-amdhsa--gfx950
amdhsa.version:
  - 1
  - 2
...

	.end_amdgpu_metadata
	.section	.debug_line,"",@progbits
.Lline_table_start0:
